;; amdgpu-corpus repo=ROCm/hipCUB kind=compiled arch=gfx1250 opt=O3
	.amdgcn_target "amdgcn-amd-amdhsa--gfx1250"
	.amdhsa_code_object_version 6
	.section	.text._Z15sort_key_kernelILj512ELj2EhN10test_utils4lessEEvPT1_T2_,"axG",@progbits,_Z15sort_key_kernelILj512ELj2EhN10test_utils4lessEEvPT1_T2_,comdat
	.protected	_Z15sort_key_kernelILj512ELj2EhN10test_utils4lessEEvPT1_T2_ ; -- Begin function _Z15sort_key_kernelILj512ELj2EhN10test_utils4lessEEvPT1_T2_
	.globl	_Z15sort_key_kernelILj512ELj2EhN10test_utils4lessEEvPT1_T2_
	.p2align	8
	.type	_Z15sort_key_kernelILj512ELj2EhN10test_utils4lessEEvPT1_T2_,@function
_Z15sort_key_kernelILj512ELj2EhN10test_utils4lessEEvPT1_T2_: ; @_Z15sort_key_kernelILj512ELj2EhN10test_utils4lessEEvPT1_T2_
; %bb.0:
	s_load_b64 s[0:1], s[0:1], 0x0
	s_bfe_u32 s2, ttmp6, 0x4000c
	s_and_b32 s3, ttmp6, 15
	s_add_co_i32 s2, s2, 1
	s_getreg_b32 s4, hwreg(HW_REG_IB_STS2, 6, 4)
	s_mul_i32 s2, ttmp9, s2
	v_lshlrev_b32_e32 v2, 1, v0
	s_add_co_i32 s3, s3, s2
	s_cmp_eq_u32 s4, 0
	v_mov_b32_e32 v3, 0
	s_cselect_b32 s2, ttmp9, s3
	s_mov_b32 s3, 0
	s_lshl_b32 s2, s2, 10
	v_and_b32_e32 v6, 0x3fc, v2
	s_delay_alu instid0(VALU_DEP_1)
	v_dual_add_nc_u32 v5, 4, v6 :: v_dual_bitop2_b32 v4, 2, v6 bitop3:0x54
	s_wait_kmcnt 0x0
	s_add_nc_u64 s[0:1], s[0:1], s[2:3]
	v_and_b32_e32 v8, 2, v2
	global_load_u16 v1, v0, s[0:1] scale_offset
	s_mov_b32 s2, exec_lo
	s_wait_xcnt 0x0
	v_dual_sub_nc_u32 v9, v5, v4 :: v_dual_sub_nc_u32 v0, v4, v6
	v_add_nc_u32_e32 v7, v4, v8
	s_wait_loadcnt 0x0
	s_barrier_signal -1
	s_barrier_wait -1
	v_and_b32_e32 v10, 0xff, v1
	v_lshrrev_b16 v11, 8, v1
	v_perm_b32 v12, 0, v1, 0xc0c0001
	s_delay_alu instid0(VALU_DEP_2) | instskip(NEXT) | instid1(VALU_DEP_2)
	v_cmp_lt_u16_e32 vcc_lo, v11, v10
	v_dual_sub_nc_u32 v13, v8, v9 :: v_dual_cndmask_b32 v1, v1, v12, vcc_lo
	v_cmp_ge_i32_e32 vcc_lo, v8, v9
	v_min_i32_e32 v0, v8, v0
	s_delay_alu instid0(VALU_DEP_3) | instskip(NEXT) | instid1(VALU_DEP_4)
	v_lshrrev_b16 v9, 8, v1
	v_cndmask_b32_e32 v8, 0, v13, vcc_lo
	ds_store_b8 v2, v1
	ds_store_b8 v2, v9 offset:1
	s_wait_dscnt 0x0
	s_barrier_signal -1
	s_barrier_wait -1
	v_cmpx_lt_i32_e64 v8, v0
	s_cbranch_execz .LBB0_3
.LBB0_1:                                ; =>This Inner Loop Header: Depth=1
	v_sub_nc_u32_e32 v1, v0, v8
	s_delay_alu instid0(VALU_DEP_1) | instskip(NEXT) | instid1(VALU_DEP_1)
	v_lshrrev_b32_e32 v1, 1, v1
	v_add_nc_u32_e32 v1, v1, v8
	s_delay_alu instid0(VALU_DEP_1)
	v_dual_add_nc_u32 v9, v6, v1 :: v_dual_add_nc_u32 v11, 1, v1
	v_xad_u32 v10, v1, -1, v7
	ds_load_u8 v9, v9
	ds_load_u8 v10, v10
	s_wait_dscnt 0x0
	v_cmp_lt_u16_e32 vcc_lo, v10, v9
	v_dual_cndmask_b32 v0, v0, v1, vcc_lo :: v_dual_cndmask_b32 v8, v11, v8, vcc_lo
	s_delay_alu instid0(VALU_DEP_1) | instskip(SKIP_1) | instid1(SALU_CYCLE_1)
	v_cmp_ge_i32_e32 vcc_lo, v8, v0
	s_or_b32 s3, vcc_lo, s3
	s_and_not1_b32 exec_lo, exec_lo, s3
	s_cbranch_execnz .LBB0_1
; %bb.2:
	s_or_b32 exec_lo, exec_lo, s3
.LBB0_3:
	s_delay_alu instid0(SALU_CYCLE_1)
	s_or_b32 exec_lo, exec_lo, s2
	v_add_nc_u64_e32 v[0:1], s[0:1], v[2:3]
	v_dual_add_nc_u32 v3, v8, v6 :: v_dual_sub_nc_u32 v6, v7, v8
	ds_load_u8 v8, v3
	ds_load_u8 v9, v6
	v_cmp_le_i32_e32 vcc_lo, v4, v3
	v_cmp_gt_i32_e64 s1, v5, v6
	s_wait_dscnt 0x1
	v_and_b32_e32 v7, 0xff, v8
	s_wait_dscnt 0x0
	v_and_b32_e32 v10, 0xff, v9
	s_delay_alu instid0(VALU_DEP_1) | instskip(SKIP_1) | instid1(SALU_CYCLE_1)
	v_cmp_lt_u16_e64 s0, v10, v7
                                        ; implicit-def: $vgpr10
	s_or_b32 s0, vcc_lo, s0
	s_and_b32 vcc_lo, s1, s0
	s_delay_alu instid0(SALU_CYCLE_1) | instskip(NEXT) | instid1(SALU_CYCLE_1)
	s_xor_b32 s0, vcc_lo, -1
	s_and_saveexec_b32 s1, s0
	s_delay_alu instid0(SALU_CYCLE_1)
	s_xor_b32 s0, exec_lo, s1
; %bb.4:
	ds_load_u8 v10, v3 offset:1
; %bb.5:
	s_or_saveexec_b32 s0, s0
	v_mov_b32_e32 v11, v9
	s_xor_b32 exec_lo, exec_lo, s0
	s_cbranch_execz .LBB0_7
; %bb.6:
	ds_load_u8 v11, v6 offset:1
	s_wait_dscnt 0x1
	v_mov_b32_e32 v10, v8
.LBB0_7:
	s_or_b32 exec_lo, exec_lo, s0
	v_dual_add_nc_u32 v12, 1, v6 :: v_dual_add_nc_u32 v13, 1, v3
	v_and_b32_e32 v7, 0x3f8, v2
	s_wait_dscnt 0x0
	v_and_b32_e32 v14, 0xff, v10
	v_and_b32_e32 v15, 0xff, v11
	v_dual_cndmask_b32 v12, v6, v12 :: v_dual_cndmask_b32 v13, v13, v3
	v_dual_add_nc_u32 v6, 8, v7 :: v_dual_bitop2_b32 v3, 4, v7 bitop3:0x54
	s_delay_alu instid0(VALU_DEP_3) | instskip(NEXT) | instid1(VALU_DEP_3)
	v_cmp_lt_u16_e64 s0, v15, v14
	v_cmp_lt_i32_e64 s2, v12, v5
	s_delay_alu instid0(VALU_DEP_4) | instskip(NEXT) | instid1(VALU_DEP_4)
	v_cmp_ge_i32_e64 s1, v13, v4
	v_dual_sub_nc_u32 v4, v6, v3 :: v_dual_bitop2_b32 v12, 6, v2 bitop3:0x40
	v_cndmask_b32_e32 v8, v8, v9, vcc_lo
	s_or_b32 s0, s1, s0
	s_barrier_signal -1
	s_and_b32 vcc_lo, s2, s0
	s_delay_alu instid0(SALU_CYCLE_1)
	v_dual_sub_nc_u32 v5, v12, v4 :: v_dual_cndmask_b32 v9, v10, v11, vcc_lo
	v_sub_nc_u32_e32 v10, v3, v7
	v_cmp_ge_i32_e32 vcc_lo, v12, v4
	s_barrier_wait -1
	ds_store_b8 v2, v8
	ds_store_b8 v2, v9 offset:1
	v_dual_cndmask_b32 v5, 0, v5 :: v_dual_min_i32 v4, v12, v10
	v_add_nc_u32_e32 v8, v3, v12
	s_mov_b32 s1, 0
	s_mov_b32 s0, exec_lo
	s_wait_dscnt 0x0
	s_barrier_signal -1
	s_barrier_wait -1
	v_cmpx_lt_i32_e64 v5, v4
	s_cbranch_execz .LBB0_10
.LBB0_8:                                ; =>This Inner Loop Header: Depth=1
	v_sub_nc_u32_e32 v9, v4, v5
	s_delay_alu instid0(VALU_DEP_1) | instskip(NEXT) | instid1(VALU_DEP_1)
	v_lshrrev_b32_e32 v9, 1, v9
	v_add_nc_u32_e32 v9, v9, v5
	s_delay_alu instid0(VALU_DEP_1)
	v_dual_add_nc_u32 v10, v7, v9 :: v_dual_add_nc_u32 v12, 1, v9
	v_xad_u32 v11, v9, -1, v8
	ds_load_u8 v10, v10
	ds_load_u8 v11, v11
	s_wait_dscnt 0x0
	v_cmp_lt_u16_e32 vcc_lo, v11, v10
	v_cndmask_b32_e32 v5, v12, v5, vcc_lo
	v_cndmask_b32_e32 v4, v4, v9, vcc_lo
	s_delay_alu instid0(VALU_DEP_1) | instskip(SKIP_1) | instid1(SALU_CYCLE_1)
	v_cmp_ge_i32_e32 vcc_lo, v5, v4
	s_or_b32 s1, vcc_lo, s1
	s_and_not1_b32 exec_lo, exec_lo, s1
	s_cbranch_execnz .LBB0_8
; %bb.9:
	s_or_b32 exec_lo, exec_lo, s1
.LBB0_10:
	s_delay_alu instid0(SALU_CYCLE_1)
	s_or_b32 exec_lo, exec_lo, s0
	v_dual_add_nc_u32 v4, v5, v7 :: v_dual_sub_nc_u32 v5, v8, v5
	ds_load_u8 v8, v4
	ds_load_u8 v9, v5
	v_cmp_le_i32_e32 vcc_lo, v3, v4
	v_cmp_gt_i32_e64 s1, v6, v5
	s_wait_dscnt 0x1
	v_and_b32_e32 v7, 0xff, v8
	s_wait_dscnt 0x0
	v_and_b32_e32 v10, 0xff, v9
	s_delay_alu instid0(VALU_DEP_1) | instskip(SKIP_1) | instid1(SALU_CYCLE_1)
	v_cmp_lt_u16_e64 s0, v10, v7
                                        ; implicit-def: $vgpr10
	s_or_b32 s0, vcc_lo, s0
	s_and_b32 vcc_lo, s1, s0
	s_delay_alu instid0(SALU_CYCLE_1) | instskip(NEXT) | instid1(SALU_CYCLE_1)
	s_xor_b32 s0, vcc_lo, -1
	s_and_saveexec_b32 s1, s0
	s_delay_alu instid0(SALU_CYCLE_1)
	s_xor_b32 s0, exec_lo, s1
; %bb.11:
	ds_load_u8 v10, v4 offset:1
; %bb.12:
	s_or_saveexec_b32 s0, s0
	v_mov_b32_e32 v11, v9
	s_xor_b32 exec_lo, exec_lo, s0
	s_cbranch_execz .LBB0_14
; %bb.13:
	ds_load_u8 v11, v5 offset:1
	s_wait_dscnt 0x1
	v_mov_b32_e32 v10, v8
.LBB0_14:
	s_or_b32 exec_lo, exec_lo, s0
	v_dual_add_nc_u32 v12, 1, v5 :: v_dual_add_nc_u32 v13, 1, v4
	v_and_b32_e32 v7, 0x3f0, v2
	s_wait_dscnt 0x0
	v_and_b32_e32 v14, 0xff, v10
	v_and_b32_e32 v15, 0xff, v11
	v_cndmask_b32_e32 v12, v5, v12, vcc_lo
	v_dual_cndmask_b32 v13, v13, v4, vcc_lo :: v_dual_bitop2_b32 v4, 8, v7 bitop3:0x54
	v_add_nc_u32_e32 v5, 16, v7
	s_delay_alu instid0(VALU_DEP_4) | instskip(NEXT) | instid1(VALU_DEP_4)
	v_cmp_lt_u16_e64 s0, v15, v14
	v_cmp_lt_i32_e64 s2, v12, v6
	s_delay_alu instid0(VALU_DEP_4) | instskip(NEXT) | instid1(VALU_DEP_4)
	v_cmp_ge_i32_e64 s1, v13, v3
	v_dual_sub_nc_u32 v3, v5, v4 :: v_dual_bitop2_b32 v12, 14, v2 bitop3:0x40
	v_cndmask_b32_e32 v8, v8, v9, vcc_lo
	s_or_b32 s0, s1, s0
	s_barrier_signal -1
	s_and_b32 vcc_lo, s2, s0
	s_barrier_wait -1
	v_cndmask_b32_e32 v9, v10, v11, vcc_lo
	v_cmp_ge_i32_e32 vcc_lo, v12, v3
	v_sub_nc_u32_e32 v10, v4, v7
	v_sub_nc_u32_e32 v6, v12, v3
	ds_store_b8 v2, v8
	ds_store_b8 v2, v9 offset:1
	v_add_nc_u32_e32 v8, v4, v12
	v_min_i32_e32 v3, v12, v10
	v_cndmask_b32_e32 v6, 0, v6, vcc_lo
	s_mov_b32 s1, 0
	s_mov_b32 s0, exec_lo
	s_wait_dscnt 0x0
	s_barrier_signal -1
	s_barrier_wait -1
	v_cmpx_lt_i32_e64 v6, v3
	s_cbranch_execz .LBB0_17
.LBB0_15:                               ; =>This Inner Loop Header: Depth=1
	v_sub_nc_u32_e32 v9, v3, v6
	s_delay_alu instid0(VALU_DEP_1) | instskip(NEXT) | instid1(VALU_DEP_1)
	v_lshrrev_b32_e32 v9, 1, v9
	v_add_nc_u32_e32 v9, v9, v6
	s_delay_alu instid0(VALU_DEP_1)
	v_dual_add_nc_u32 v10, v7, v9 :: v_dual_add_nc_u32 v12, 1, v9
	v_xad_u32 v11, v9, -1, v8
	ds_load_u8 v10, v10
	ds_load_u8 v11, v11
	s_wait_dscnt 0x0
	v_cmp_lt_u16_e32 vcc_lo, v11, v10
	v_dual_cndmask_b32 v3, v3, v9 :: v_dual_cndmask_b32 v6, v12, v6
	s_delay_alu instid0(VALU_DEP_1) | instskip(SKIP_1) | instid1(SALU_CYCLE_1)
	v_cmp_ge_i32_e32 vcc_lo, v6, v3
	s_or_b32 s1, vcc_lo, s1
	s_and_not1_b32 exec_lo, exec_lo, s1
	s_cbranch_execnz .LBB0_15
; %bb.16:
	s_or_b32 exec_lo, exec_lo, s1
.LBB0_17:
	s_delay_alu instid0(SALU_CYCLE_1)
	s_or_b32 exec_lo, exec_lo, s0
	v_dual_add_nc_u32 v3, v6, v7 :: v_dual_sub_nc_u32 v6, v8, v6
	ds_load_u8 v8, v3
	ds_load_u8 v9, v6
	v_cmp_le_i32_e32 vcc_lo, v4, v3
	v_cmp_gt_i32_e64 s1, v5, v6
	s_wait_dscnt 0x1
	v_and_b32_e32 v7, 0xff, v8
	s_wait_dscnt 0x0
	v_and_b32_e32 v10, 0xff, v9
	s_delay_alu instid0(VALU_DEP_1) | instskip(SKIP_1) | instid1(SALU_CYCLE_1)
	v_cmp_lt_u16_e64 s0, v10, v7
                                        ; implicit-def: $vgpr10
	s_or_b32 s0, vcc_lo, s0
	s_and_b32 vcc_lo, s1, s0
	s_delay_alu instid0(SALU_CYCLE_1) | instskip(NEXT) | instid1(SALU_CYCLE_1)
	s_xor_b32 s0, vcc_lo, -1
	s_and_saveexec_b32 s1, s0
	s_delay_alu instid0(SALU_CYCLE_1)
	s_xor_b32 s0, exec_lo, s1
; %bb.18:
	ds_load_u8 v10, v3 offset:1
; %bb.19:
	s_or_saveexec_b32 s0, s0
	v_mov_b32_e32 v11, v9
	s_xor_b32 exec_lo, exec_lo, s0
	s_cbranch_execz .LBB0_21
; %bb.20:
	ds_load_u8 v11, v6 offset:1
	s_wait_dscnt 0x1
	v_mov_b32_e32 v10, v8
.LBB0_21:
	s_or_b32 exec_lo, exec_lo, s0
	v_dual_add_nc_u32 v12, 1, v6 :: v_dual_add_nc_u32 v13, 1, v3
	v_and_b32_e32 v7, 0x3e0, v2
	s_wait_dscnt 0x0
	v_and_b32_e32 v14, 0xff, v10
	v_and_b32_e32 v15, 0xff, v11
	v_dual_cndmask_b32 v12, v6, v12 :: v_dual_cndmask_b32 v13, v13, v3
	v_dual_add_nc_u32 v6, 32, v7 :: v_dual_bitop2_b32 v3, 16, v7 bitop3:0x54
	s_delay_alu instid0(VALU_DEP_3) | instskip(NEXT) | instid1(VALU_DEP_3)
	v_cmp_lt_u16_e64 s0, v15, v14
	v_cmp_lt_i32_e64 s2, v12, v5
	s_delay_alu instid0(VALU_DEP_4) | instskip(NEXT) | instid1(VALU_DEP_4)
	v_cmp_ge_i32_e64 s1, v13, v4
	v_dual_sub_nc_u32 v4, v6, v3 :: v_dual_bitop2_b32 v12, 30, v2 bitop3:0x40
	v_cndmask_b32_e32 v8, v8, v9, vcc_lo
	s_or_b32 s0, s1, s0
	s_barrier_signal -1
	s_and_b32 vcc_lo, s2, s0
	s_delay_alu instid0(SALU_CYCLE_1)
	v_dual_sub_nc_u32 v5, v12, v4 :: v_dual_cndmask_b32 v9, v10, v11, vcc_lo
	v_sub_nc_u32_e32 v10, v3, v7
	v_cmp_ge_i32_e32 vcc_lo, v12, v4
	s_barrier_wait -1
	ds_store_b8 v2, v8
	ds_store_b8 v2, v9 offset:1
	v_dual_cndmask_b32 v5, 0, v5 :: v_dual_min_i32 v4, v12, v10
	v_add_nc_u32_e32 v8, v3, v12
	s_mov_b32 s1, 0
	s_mov_b32 s0, exec_lo
	s_wait_dscnt 0x0
	s_barrier_signal -1
	s_barrier_wait -1
	v_cmpx_lt_i32_e64 v5, v4
	s_cbranch_execz .LBB0_24
.LBB0_22:                               ; =>This Inner Loop Header: Depth=1
	v_sub_nc_u32_e32 v9, v4, v5
	s_delay_alu instid0(VALU_DEP_1) | instskip(NEXT) | instid1(VALU_DEP_1)
	v_lshrrev_b32_e32 v9, 1, v9
	v_add_nc_u32_e32 v9, v9, v5
	s_delay_alu instid0(VALU_DEP_1)
	v_dual_add_nc_u32 v10, v7, v9 :: v_dual_add_nc_u32 v12, 1, v9
	v_xad_u32 v11, v9, -1, v8
	ds_load_u8 v10, v10
	ds_load_u8 v11, v11
	s_wait_dscnt 0x0
	v_cmp_lt_u16_e32 vcc_lo, v11, v10
	v_cndmask_b32_e32 v5, v12, v5, vcc_lo
	v_cndmask_b32_e32 v4, v4, v9, vcc_lo
	s_delay_alu instid0(VALU_DEP_1) | instskip(SKIP_1) | instid1(SALU_CYCLE_1)
	v_cmp_ge_i32_e32 vcc_lo, v5, v4
	s_or_b32 s1, vcc_lo, s1
	s_and_not1_b32 exec_lo, exec_lo, s1
	s_cbranch_execnz .LBB0_22
; %bb.23:
	s_or_b32 exec_lo, exec_lo, s1
.LBB0_24:
	s_delay_alu instid0(SALU_CYCLE_1)
	s_or_b32 exec_lo, exec_lo, s0
	v_dual_add_nc_u32 v4, v5, v7 :: v_dual_sub_nc_u32 v5, v8, v5
	ds_load_u8 v8, v4
	ds_load_u8 v9, v5
	v_cmp_le_i32_e32 vcc_lo, v3, v4
	v_cmp_gt_i32_e64 s1, v6, v5
	s_wait_dscnt 0x1
	v_and_b32_e32 v7, 0xff, v8
	s_wait_dscnt 0x0
	v_and_b32_e32 v10, 0xff, v9
	s_delay_alu instid0(VALU_DEP_1) | instskip(SKIP_1) | instid1(SALU_CYCLE_1)
	v_cmp_lt_u16_e64 s0, v10, v7
                                        ; implicit-def: $vgpr10
	s_or_b32 s0, vcc_lo, s0
	s_and_b32 vcc_lo, s1, s0
	s_delay_alu instid0(SALU_CYCLE_1) | instskip(NEXT) | instid1(SALU_CYCLE_1)
	s_xor_b32 s0, vcc_lo, -1
	s_and_saveexec_b32 s1, s0
	s_delay_alu instid0(SALU_CYCLE_1)
	s_xor_b32 s0, exec_lo, s1
; %bb.25:
	ds_load_u8 v10, v4 offset:1
; %bb.26:
	s_or_saveexec_b32 s0, s0
	v_mov_b32_e32 v11, v9
	s_xor_b32 exec_lo, exec_lo, s0
	s_cbranch_execz .LBB0_28
; %bb.27:
	ds_load_u8 v11, v5 offset:1
	s_wait_dscnt 0x1
	v_mov_b32_e32 v10, v8
.LBB0_28:
	s_or_b32 exec_lo, exec_lo, s0
	v_dual_add_nc_u32 v12, 1, v5 :: v_dual_add_nc_u32 v13, 1, v4
	v_and_b32_e32 v7, 0x3c0, v2
	s_wait_dscnt 0x0
	v_and_b32_e32 v14, 0xff, v10
	v_and_b32_e32 v15, 0xff, v11
	v_cndmask_b32_e32 v12, v5, v12, vcc_lo
	v_dual_cndmask_b32 v13, v13, v4, vcc_lo :: v_dual_bitop2_b32 v4, 32, v7 bitop3:0x54
	v_add_nc_u32_e32 v5, 64, v7
	s_delay_alu instid0(VALU_DEP_4) | instskip(NEXT) | instid1(VALU_DEP_4)
	v_cmp_lt_u16_e64 s0, v15, v14
	v_cmp_lt_i32_e64 s2, v12, v6
	s_delay_alu instid0(VALU_DEP_4) | instskip(NEXT) | instid1(VALU_DEP_4)
	v_cmp_ge_i32_e64 s1, v13, v3
	v_dual_sub_nc_u32 v3, v5, v4 :: v_dual_bitop2_b32 v12, 62, v2 bitop3:0x40
	v_cndmask_b32_e32 v8, v8, v9, vcc_lo
	s_or_b32 s0, s1, s0
	s_barrier_signal -1
	s_and_b32 vcc_lo, s2, s0
	s_barrier_wait -1
	v_cndmask_b32_e32 v9, v10, v11, vcc_lo
	v_cmp_ge_i32_e32 vcc_lo, v12, v3
	v_sub_nc_u32_e32 v10, v4, v7
	v_sub_nc_u32_e32 v6, v12, v3
	ds_store_b8 v2, v8
	ds_store_b8 v2, v9 offset:1
	v_add_nc_u32_e32 v8, v4, v12
	v_min_i32_e32 v3, v12, v10
	v_cndmask_b32_e32 v6, 0, v6, vcc_lo
	s_mov_b32 s1, 0
	s_mov_b32 s0, exec_lo
	s_wait_dscnt 0x0
	s_barrier_signal -1
	s_barrier_wait -1
	v_cmpx_lt_i32_e64 v6, v3
	s_cbranch_execz .LBB0_31
.LBB0_29:                               ; =>This Inner Loop Header: Depth=1
	v_sub_nc_u32_e32 v9, v3, v6
	s_delay_alu instid0(VALU_DEP_1) | instskip(NEXT) | instid1(VALU_DEP_1)
	v_lshrrev_b32_e32 v9, 1, v9
	v_add_nc_u32_e32 v9, v9, v6
	s_delay_alu instid0(VALU_DEP_1)
	v_dual_add_nc_u32 v10, v7, v9 :: v_dual_add_nc_u32 v12, 1, v9
	v_xad_u32 v11, v9, -1, v8
	ds_load_u8 v10, v10
	ds_load_u8 v11, v11
	s_wait_dscnt 0x0
	v_cmp_lt_u16_e32 vcc_lo, v11, v10
	v_dual_cndmask_b32 v3, v3, v9 :: v_dual_cndmask_b32 v6, v12, v6
	s_delay_alu instid0(VALU_DEP_1) | instskip(SKIP_1) | instid1(SALU_CYCLE_1)
	v_cmp_ge_i32_e32 vcc_lo, v6, v3
	s_or_b32 s1, vcc_lo, s1
	s_and_not1_b32 exec_lo, exec_lo, s1
	s_cbranch_execnz .LBB0_29
; %bb.30:
	s_or_b32 exec_lo, exec_lo, s1
.LBB0_31:
	s_delay_alu instid0(SALU_CYCLE_1)
	s_or_b32 exec_lo, exec_lo, s0
	v_dual_add_nc_u32 v3, v6, v7 :: v_dual_sub_nc_u32 v6, v8, v6
	ds_load_u8 v8, v3
	ds_load_u8 v9, v6
	v_cmp_le_i32_e32 vcc_lo, v4, v3
	v_cmp_gt_i32_e64 s1, v5, v6
	s_wait_dscnt 0x1
	v_and_b32_e32 v7, 0xff, v8
	s_wait_dscnt 0x0
	v_and_b32_e32 v10, 0xff, v9
	s_delay_alu instid0(VALU_DEP_1) | instskip(SKIP_1) | instid1(SALU_CYCLE_1)
	v_cmp_lt_u16_e64 s0, v10, v7
                                        ; implicit-def: $vgpr10
	s_or_b32 s0, vcc_lo, s0
	s_and_b32 vcc_lo, s1, s0
	s_delay_alu instid0(SALU_CYCLE_1) | instskip(NEXT) | instid1(SALU_CYCLE_1)
	s_xor_b32 s0, vcc_lo, -1
	s_and_saveexec_b32 s1, s0
	s_delay_alu instid0(SALU_CYCLE_1)
	s_xor_b32 s0, exec_lo, s1
; %bb.32:
	ds_load_u8 v10, v3 offset:1
; %bb.33:
	s_or_saveexec_b32 s0, s0
	v_mov_b32_e32 v11, v9
	s_xor_b32 exec_lo, exec_lo, s0
	s_cbranch_execz .LBB0_35
; %bb.34:
	ds_load_u8 v11, v6 offset:1
	s_wait_dscnt 0x1
	v_mov_b32_e32 v10, v8
.LBB0_35:
	s_or_b32 exec_lo, exec_lo, s0
	v_dual_add_nc_u32 v12, 1, v6 :: v_dual_add_nc_u32 v13, 1, v3
	s_wait_dscnt 0x0
	s_delay_alu instid0(VALU_DEP_2) | instskip(SKIP_4) | instid1(VALU_DEP_4)
	v_and_b32_e32 v14, 0xff, v10
	v_and_b32_e32 v15, 0xff, v11
	;; [unrolled: 1-line block ×3, first 2 shown]
	v_dual_cndmask_b32 v12, v6, v12 :: v_dual_cndmask_b32 v13, v13, v3
	v_cndmask_b32_e32 v8, v8, v9, vcc_lo
	v_cmp_lt_u16_e64 s0, v15, v14
	s_delay_alu instid0(VALU_DEP_4) | instskip(NEXT) | instid1(VALU_DEP_4)
	v_or_b32_e32 v3, 64, v7
	v_cmp_lt_i32_e64 s2, v12, v5
	v_cmp_ge_i32_e64 s1, v13, v4
	v_add_nc_u32_e32 v6, 0x80, v7
	v_and_b32_e32 v12, 0x7e, v2
	s_barrier_signal -1
	s_or_b32 s0, s1, s0
	s_delay_alu instid0(VALU_DEP_2)
	v_sub_nc_u32_e32 v4, v6, v3
	s_and_b32 vcc_lo, s2, s0
	s_barrier_wait -1
	v_cndmask_b32_e32 v9, v10, v11, vcc_lo
	v_sub_nc_u32_e32 v10, v3, v7
	ds_store_b8 v2, v8
	ds_store_b8 v2, v9 offset:1
	v_add_nc_u32_e32 v8, v3, v12
	v_sub_nc_u32_e32 v5, v12, v4
	v_cmp_ge_i32_e32 vcc_lo, v12, v4
	v_min_i32_e32 v4, v12, v10
	s_mov_b32 s1, 0
	s_mov_b32 s0, exec_lo
	s_wait_dscnt 0x0
	v_cndmask_b32_e32 v5, 0, v5, vcc_lo
	s_barrier_signal -1
	s_barrier_wait -1
	s_delay_alu instid0(VALU_DEP_1)
	v_cmpx_lt_i32_e64 v5, v4
	s_cbranch_execz .LBB0_38
.LBB0_36:                               ; =>This Inner Loop Header: Depth=1
	v_sub_nc_u32_e32 v9, v4, v5
	s_delay_alu instid0(VALU_DEP_1) | instskip(NEXT) | instid1(VALU_DEP_1)
	v_lshrrev_b32_e32 v9, 1, v9
	v_add_nc_u32_e32 v9, v9, v5
	s_delay_alu instid0(VALU_DEP_1)
	v_dual_add_nc_u32 v10, v7, v9 :: v_dual_add_nc_u32 v12, 1, v9
	v_xad_u32 v11, v9, -1, v8
	ds_load_u8 v10, v10
	ds_load_u8 v11, v11
	s_wait_dscnt 0x0
	v_cmp_lt_u16_e32 vcc_lo, v11, v10
	v_cndmask_b32_e32 v5, v12, v5, vcc_lo
	v_cndmask_b32_e32 v4, v4, v9, vcc_lo
	s_delay_alu instid0(VALU_DEP_1) | instskip(SKIP_1) | instid1(SALU_CYCLE_1)
	v_cmp_ge_i32_e32 vcc_lo, v5, v4
	s_or_b32 s1, vcc_lo, s1
	s_and_not1_b32 exec_lo, exec_lo, s1
	s_cbranch_execnz .LBB0_36
; %bb.37:
	s_or_b32 exec_lo, exec_lo, s1
.LBB0_38:
	s_delay_alu instid0(SALU_CYCLE_1)
	s_or_b32 exec_lo, exec_lo, s0
	v_dual_add_nc_u32 v4, v5, v7 :: v_dual_sub_nc_u32 v5, v8, v5
	ds_load_u8 v8, v4
	ds_load_u8 v9, v5
	v_cmp_le_i32_e32 vcc_lo, v3, v4
	v_cmp_gt_i32_e64 s1, v6, v5
	s_wait_dscnt 0x1
	v_and_b32_e32 v7, 0xff, v8
	s_wait_dscnt 0x0
	v_and_b32_e32 v10, 0xff, v9
	s_delay_alu instid0(VALU_DEP_1) | instskip(SKIP_1) | instid1(SALU_CYCLE_1)
	v_cmp_lt_u16_e64 s0, v10, v7
                                        ; implicit-def: $vgpr10
	s_or_b32 s0, vcc_lo, s0
	s_and_b32 vcc_lo, s1, s0
	s_delay_alu instid0(SALU_CYCLE_1) | instskip(NEXT) | instid1(SALU_CYCLE_1)
	s_xor_b32 s0, vcc_lo, -1
	s_and_saveexec_b32 s1, s0
	s_delay_alu instid0(SALU_CYCLE_1)
	s_xor_b32 s0, exec_lo, s1
; %bb.39:
	ds_load_u8 v10, v4 offset:1
; %bb.40:
	s_or_saveexec_b32 s0, s0
	v_mov_b32_e32 v11, v9
	s_xor_b32 exec_lo, exec_lo, s0
	s_cbranch_execz .LBB0_42
; %bb.41:
	ds_load_u8 v11, v5 offset:1
	s_wait_dscnt 0x1
	v_mov_b32_e32 v10, v8
.LBB0_42:
	s_or_b32 exec_lo, exec_lo, s0
	v_dual_add_nc_u32 v12, 1, v5 :: v_dual_add_nc_u32 v13, 1, v4
	s_wait_dscnt 0x0
	s_delay_alu instid0(VALU_DEP_2) | instskip(SKIP_4) | instid1(VALU_DEP_4)
	v_and_b32_e32 v14, 0xff, v10
	v_and_b32_e32 v15, 0xff, v11
	;; [unrolled: 1-line block ×3, first 2 shown]
	v_cndmask_b32_e32 v12, v5, v12, vcc_lo
	v_dual_cndmask_b32 v13, v13, v4 :: v_dual_cndmask_b32 v8, v8, v9
	v_cmp_lt_u16_e64 s0, v15, v14
	s_delay_alu instid0(VALU_DEP_4) | instskip(SKIP_1) | instid1(VALU_DEP_4)
	v_or_b32_e32 v4, 0x80, v7
	v_add_nc_u32_e32 v5, 0x100, v7
	v_cmp_ge_i32_e64 s1, v13, v3
	v_cmp_lt_i32_e64 s2, v12, v6
	v_and_b32_e32 v12, 0xfe, v2
	s_barrier_signal -1
	s_or_b32 s0, s1, s0
	s_barrier_wait -1
	s_and_b32 vcc_lo, s2, s0
	s_delay_alu instid0(SALU_CYCLE_1)
	v_dual_sub_nc_u32 v3, v5, v4 :: v_dual_cndmask_b32 v9, v10, v11, vcc_lo
	s_mov_b32 s1, 0
	ds_store_b8 v2, v8
	ds_store_b8 v2, v9 offset:1
	v_cmp_ge_i32_e32 vcc_lo, v12, v3
	v_sub_nc_u32_e32 v10, v4, v7
	v_sub_nc_u32_e32 v6, v12, v3
	v_add_nc_u32_e32 v8, v4, v12
	s_mov_b32 s0, exec_lo
	s_wait_dscnt 0x0
	v_min_i32_e32 v3, v12, v10
	v_cndmask_b32_e32 v6, 0, v6, vcc_lo
	s_barrier_signal -1
	s_barrier_wait -1
	s_delay_alu instid0(VALU_DEP_1)
	v_cmpx_lt_i32_e64 v6, v3
	s_cbranch_execz .LBB0_45
.LBB0_43:                               ; =>This Inner Loop Header: Depth=1
	v_sub_nc_u32_e32 v9, v3, v6
	s_delay_alu instid0(VALU_DEP_1) | instskip(NEXT) | instid1(VALU_DEP_1)
	v_lshrrev_b32_e32 v9, 1, v9
	v_add_nc_u32_e32 v9, v9, v6
	s_delay_alu instid0(VALU_DEP_1)
	v_dual_add_nc_u32 v10, v7, v9 :: v_dual_add_nc_u32 v12, 1, v9
	v_xad_u32 v11, v9, -1, v8
	ds_load_u8 v10, v10
	ds_load_u8 v11, v11
	s_wait_dscnt 0x0
	v_cmp_lt_u16_e32 vcc_lo, v11, v10
	v_dual_cndmask_b32 v3, v3, v9 :: v_dual_cndmask_b32 v6, v12, v6
	s_delay_alu instid0(VALU_DEP_1) | instskip(SKIP_1) | instid1(SALU_CYCLE_1)
	v_cmp_ge_i32_e32 vcc_lo, v6, v3
	s_or_b32 s1, vcc_lo, s1
	s_and_not1_b32 exec_lo, exec_lo, s1
	s_cbranch_execnz .LBB0_43
; %bb.44:
	s_or_b32 exec_lo, exec_lo, s1
.LBB0_45:
	s_delay_alu instid0(SALU_CYCLE_1)
	s_or_b32 exec_lo, exec_lo, s0
	v_dual_add_nc_u32 v3, v6, v7 :: v_dual_sub_nc_u32 v6, v8, v6
	ds_load_u8 v8, v3
	ds_load_u8 v9, v6
	v_cmp_le_i32_e32 vcc_lo, v4, v3
	v_cmp_gt_i32_e64 s1, v5, v6
	s_wait_dscnt 0x1
	v_and_b32_e32 v7, 0xff, v8
	s_wait_dscnt 0x0
	v_and_b32_e32 v10, 0xff, v9
	s_delay_alu instid0(VALU_DEP_1) | instskip(SKIP_1) | instid1(SALU_CYCLE_1)
	v_cmp_lt_u16_e64 s0, v10, v7
                                        ; implicit-def: $vgpr10
	s_or_b32 s0, vcc_lo, s0
	s_and_b32 vcc_lo, s1, s0
	s_delay_alu instid0(SALU_CYCLE_1) | instskip(NEXT) | instid1(SALU_CYCLE_1)
	s_xor_b32 s0, vcc_lo, -1
	s_and_saveexec_b32 s1, s0
	s_delay_alu instid0(SALU_CYCLE_1)
	s_xor_b32 s0, exec_lo, s1
; %bb.46:
	ds_load_u8 v10, v3 offset:1
; %bb.47:
	s_or_saveexec_b32 s0, s0
	v_mov_b32_e32 v11, v9
	s_xor_b32 exec_lo, exec_lo, s0
	s_cbranch_execz .LBB0_49
; %bb.48:
	ds_load_u8 v11, v6 offset:1
	s_wait_dscnt 0x1
	v_mov_b32_e32 v10, v8
.LBB0_49:
	s_or_b32 exec_lo, exec_lo, s0
	v_dual_add_nc_u32 v12, 1, v6 :: v_dual_add_nc_u32 v13, 1, v3
	v_and_b32_e32 v7, 0x200, v2
	s_wait_dscnt 0x0
	v_and_b32_e32 v14, 0xff, v10
	v_and_b32_e32 v15, 0xff, v11
	v_dual_cndmask_b32 v12, v6, v12 :: v_dual_cndmask_b32 v13, v13, v3
	v_or_b32_e32 v6, 0x100, v7
	v_add_nc_u32_e32 v3, 0x200, v7
	s_delay_alu instid0(VALU_DEP_4) | instskip(NEXT) | instid1(VALU_DEP_4)
	v_cmp_lt_u16_e64 s0, v15, v14
	v_cmp_lt_i32_e64 s2, v12, v5
	v_cmp_ge_i32_e64 s1, v13, v4
	v_and_b32_e32 v5, 0x1fe, v2
	v_dual_cndmask_b32 v9, v8, v9 :: v_dual_sub_nc_u32 v4, v3, v6
	s_or_b32 s0, s1, s0
	s_mov_b32 s1, 0
	s_and_b32 vcc_lo, s2, s0
	s_delay_alu instid0(VALU_DEP_1) | instid1(SALU_CYCLE_1)
	v_dual_sub_nc_u32 v8, v5, v4 :: v_dual_cndmask_b32 v10, v10, v11, vcc_lo
	v_sub_nc_u32_e32 v11, v6, v7
	v_cmp_ge_i32_e32 vcc_lo, v5, v4
	s_mov_b32 s0, exec_lo
	s_barrier_signal -1
	s_barrier_wait -1
	v_dual_cndmask_b32 v4, 0, v8, vcc_lo :: v_dual_min_i32 v8, v5, v11
	v_add_nc_u32_e32 v5, v6, v5
	ds_store_b8 v2, v9
	ds_store_b8 v2, v10 offset:1
	s_wait_dscnt 0x0
	s_barrier_signal -1
	s_barrier_wait -1
	v_cmpx_lt_i32_e64 v4, v8
	s_cbranch_execz .LBB0_52
.LBB0_50:                               ; =>This Inner Loop Header: Depth=1
	v_sub_nc_u32_e32 v9, v8, v4
	s_delay_alu instid0(VALU_DEP_1) | instskip(NEXT) | instid1(VALU_DEP_1)
	v_lshrrev_b32_e32 v9, 1, v9
	v_add_nc_u32_e32 v9, v9, v4
	s_delay_alu instid0(VALU_DEP_1)
	v_dual_add_nc_u32 v10, v7, v9 :: v_dual_add_nc_u32 v12, 1, v9
	v_xad_u32 v11, v9, -1, v5
	ds_load_u8 v10, v10
	ds_load_u8 v11, v11
	s_wait_dscnt 0x0
	v_cmp_lt_u16_e32 vcc_lo, v11, v10
	v_cndmask_b32_e32 v8, v8, v9, vcc_lo
	v_cndmask_b32_e32 v4, v12, v4, vcc_lo
	s_delay_alu instid0(VALU_DEP_1) | instskip(SKIP_1) | instid1(SALU_CYCLE_1)
	v_cmp_ge_i32_e32 vcc_lo, v4, v8
	s_or_b32 s1, vcc_lo, s1
	s_and_not1_b32 exec_lo, exec_lo, s1
	s_cbranch_execnz .LBB0_50
; %bb.51:
	s_or_b32 exec_lo, exec_lo, s1
.LBB0_52:
	s_delay_alu instid0(SALU_CYCLE_1)
	s_or_b32 exec_lo, exec_lo, s0
	v_dual_add_nc_u32 v7, v4, v7 :: v_dual_sub_nc_u32 v5, v5, v4
	ds_load_u8 v8, v7
	ds_load_u8 v9, v5
	v_cmp_le_i32_e32 vcc_lo, v6, v7
	v_cmp_gt_i32_e64 s1, v3, v5
	s_wait_dscnt 0x1
	v_and_b32_e32 v4, 0xff, v8
	s_wait_dscnt 0x0
	v_and_b32_e32 v10, 0xff, v9
	s_delay_alu instid0(VALU_DEP_1) | instskip(SKIP_1) | instid1(SALU_CYCLE_1)
	v_cmp_lt_u16_e64 s0, v10, v4
                                        ; implicit-def: $vgpr4
	s_or_b32 s0, vcc_lo, s0
	s_and_b32 vcc_lo, s1, s0
	s_delay_alu instid0(SALU_CYCLE_1) | instskip(NEXT) | instid1(SALU_CYCLE_1)
	s_xor_b32 s0, vcc_lo, -1
	s_and_saveexec_b32 s1, s0
	s_delay_alu instid0(SALU_CYCLE_1)
	s_xor_b32 s0, exec_lo, s1
; %bb.53:
	ds_load_u8 v4, v7 offset:1
; %bb.54:
	s_or_saveexec_b32 s0, s0
	v_mov_b32_e32 v10, v9
	s_xor_b32 exec_lo, exec_lo, s0
	s_cbranch_execz .LBB0_56
; %bb.55:
	ds_load_u8 v10, v5 offset:1
	s_wait_dscnt 0x1
	v_mov_b32_e32 v4, v8
.LBB0_56:
	s_or_b32 exec_lo, exec_lo, s0
	v_dual_add_nc_u32 v11, 1, v7 :: v_dual_add_nc_u32 v12, 1, v5
	s_wait_dscnt 0x0
	s_delay_alu instid0(VALU_DEP_2) | instskip(SKIP_1) | instid1(VALU_DEP_3)
	v_and_b32_e32 v13, 0xff, v4
	v_and_b32_e32 v14, 0xff, v10
	v_dual_cndmask_b32 v7, v11, v7 :: v_dual_cndmask_b32 v8, v8, v9
	v_cndmask_b32_e32 v5, v5, v12, vcc_lo
	s_delay_alu instid0(VALU_DEP_3) | instskip(SKIP_1) | instid1(VALU_DEP_4)
	v_cmp_lt_u16_e32 vcc_lo, v14, v13
	v_and_b32_e32 v9, 0x3fe, v2
	v_cmp_ge_i32_e64 s0, v7, v6
	s_barrier_signal -1
	v_cmp_lt_i32_e64 s1, v5, v3
	s_barrier_wait -1
	v_subrev_nc_u32_e64 v3, 0x200, v9 clamp
	s_or_b32 s0, s0, vcc_lo
	v_min_i32_e32 v5, 0x200, v9
	s_and_b32 vcc_lo, s1, s0
	v_cndmask_b32_e32 v4, v4, v10, vcc_lo
	s_mov_b32 s0, exec_lo
	ds_store_b8 v2, v8
	ds_store_b8 v2, v4 offset:1
	v_add_nc_u32_e32 v2, 0x200, v9
	s_wait_dscnt 0x0
	s_barrier_signal -1
	s_barrier_wait -1
	v_cmpx_lt_i32_e64 v3, v5
	s_cbranch_execz .LBB0_60
; %bb.57:
	s_mov_b32 s1, 0
.LBB0_58:                               ; =>This Inner Loop Header: Depth=1
	v_sub_nc_u32_e32 v4, v5, v3
	s_delay_alu instid0(VALU_DEP_1) | instskip(NEXT) | instid1(VALU_DEP_1)
	v_lshrrev_b32_e32 v4, 1, v4
	v_add_nc_u32_e32 v4, v4, v3
	s_delay_alu instid0(VALU_DEP_1)
	v_xad_u32 v6, v4, -1, v2
	ds_load_u8 v7, v4
	ds_load_u8 v6, v6
	s_wait_dscnt 0x0
	v_cmp_lt_u16_e32 vcc_lo, v6, v7
	v_dual_cndmask_b32 v5, v5, v4 :: v_dual_add_nc_u32 v8, 1, v4
	s_delay_alu instid0(VALU_DEP_1) | instskip(NEXT) | instid1(VALU_DEP_1)
	v_cndmask_b32_e32 v3, v8, v3, vcc_lo
	v_cmp_ge_i32_e32 vcc_lo, v3, v5
	s_or_b32 s1, vcc_lo, s1
	s_delay_alu instid0(SALU_CYCLE_1)
	s_and_not1_b32 exec_lo, exec_lo, s1
	s_cbranch_execnz .LBB0_58
; %bb.59:
	s_or_b32 exec_lo, exec_lo, s1
.LBB0_60:
	s_delay_alu instid0(SALU_CYCLE_1)
	s_or_b32 exec_lo, exec_lo, s0
	v_sub_nc_u32_e32 v2, v2, v3
	v_cmp_gt_i32_e32 vcc_lo, 0x200, v3
	ds_load_u8 v5, v3
	ds_load_u8 v4, v2
	v_cmp_lt_i32_e64 s1, 0x3ff, v2
	s_wait_dscnt 0x1
	v_and_b32_e32 v6, 0xff, v5
	s_wait_dscnt 0x0
	v_and_b32_e32 v7, 0xff, v4
	s_delay_alu instid0(VALU_DEP_1) | instskip(SKIP_1) | instid1(SALU_CYCLE_1)
	v_cmp_ge_u16_e64 s0, v7, v6
                                        ; implicit-def: $vgpr6
                                        ; implicit-def: $vgpr7
	s_and_b32 s0, vcc_lo, s0
	s_or_b32 s0, s1, s0
	s_delay_alu instid0(SALU_CYCLE_1) | instskip(NEXT) | instid1(SALU_CYCLE_1)
	s_and_saveexec_b32 s1, s0
	s_xor_b32 s0, exec_lo, s1
; %bb.61:
	ds_load_u8 v6, v3 offset:1
	v_add_nc_u32_e32 v7, 1, v3
                                        ; implicit-def: $vgpr3
; %bb.62:
	s_or_saveexec_b32 s0, s0
	v_mov_b32_e32 v8, v5
	s_xor_b32 exec_lo, exec_lo, s0
	s_cbranch_execz .LBB0_64
; %bb.63:
	ds_load_u8 v9, v2 offset:1
	v_dual_add_nc_u32 v2, 1, v2 :: v_dual_mov_b32 v8, v4
	s_wait_dscnt 0x1
	v_dual_mov_b32 v7, v3 :: v_dual_mov_b32 v6, v5
	s_wait_dscnt 0x0
	v_mov_b32_e32 v4, v9
.LBB0_64:
	s_or_b32 exec_lo, exec_lo, s0
	s_wait_dscnt 0x0
	v_and_b32_e32 v3, 0xff, v6
	s_delay_alu instid0(VALU_DEP_2) | instskip(SKIP_2) | instid1(VALU_DEP_3)
	v_and_b32_e32 v5, 0xff, v4
	v_cmp_le_i32_e32 vcc_lo, 0x200, v7
	v_cmp_gt_i32_e64 s1, 0x400, v2
	v_cmp_lt_u16_e64 s0, v5, v3
	s_or_b32 s0, vcc_lo, s0
	s_delay_alu instid0(SALU_CYCLE_1) | instskip(SKIP_1) | instid1(VALU_DEP_1)
	s_and_b32 vcc_lo, s1, s0
	v_cndmask_b32_e32 v2, v6, v4, vcc_lo
	v_lshlrev_b16 v2, 8, v2
	s_delay_alu instid0(VALU_DEP_1)
	v_bitop3_b16 v2, v8, v2, 0xff bitop3:0xec
	global_store_b16 v[0:1], v2, off
	s_endpgm
	.section	.rodata,"a",@progbits
	.p2align	6, 0x0
	.amdhsa_kernel _Z15sort_key_kernelILj512ELj2EhN10test_utils4lessEEvPT1_T2_
		.amdhsa_group_segment_fixed_size 1025
		.amdhsa_private_segment_fixed_size 0
		.amdhsa_kernarg_size 12
		.amdhsa_user_sgpr_count 2
		.amdhsa_user_sgpr_dispatch_ptr 0
		.amdhsa_user_sgpr_queue_ptr 0
		.amdhsa_user_sgpr_kernarg_segment_ptr 1
		.amdhsa_user_sgpr_dispatch_id 0
		.amdhsa_user_sgpr_kernarg_preload_length 0
		.amdhsa_user_sgpr_kernarg_preload_offset 0
		.amdhsa_user_sgpr_private_segment_size 0
		.amdhsa_wavefront_size32 1
		.amdhsa_uses_dynamic_stack 0
		.amdhsa_enable_private_segment 0
		.amdhsa_system_sgpr_workgroup_id_x 1
		.amdhsa_system_sgpr_workgroup_id_y 0
		.amdhsa_system_sgpr_workgroup_id_z 0
		.amdhsa_system_sgpr_workgroup_info 0
		.amdhsa_system_vgpr_workitem_id 0
		.amdhsa_next_free_vgpr 16
		.amdhsa_next_free_sgpr 5
		.amdhsa_named_barrier_count 0
		.amdhsa_reserve_vcc 1
		.amdhsa_float_round_mode_32 0
		.amdhsa_float_round_mode_16_64 0
		.amdhsa_float_denorm_mode_32 3
		.amdhsa_float_denorm_mode_16_64 3
		.amdhsa_fp16_overflow 0
		.amdhsa_memory_ordered 1
		.amdhsa_forward_progress 1
		.amdhsa_inst_pref_size 34
		.amdhsa_round_robin_scheduling 0
		.amdhsa_exception_fp_ieee_invalid_op 0
		.amdhsa_exception_fp_denorm_src 0
		.amdhsa_exception_fp_ieee_div_zero 0
		.amdhsa_exception_fp_ieee_overflow 0
		.amdhsa_exception_fp_ieee_underflow 0
		.amdhsa_exception_fp_ieee_inexact 0
		.amdhsa_exception_int_div_zero 0
	.end_amdhsa_kernel
	.section	.text._Z15sort_key_kernelILj512ELj2EhN10test_utils4lessEEvPT1_T2_,"axG",@progbits,_Z15sort_key_kernelILj512ELj2EhN10test_utils4lessEEvPT1_T2_,comdat
.Lfunc_end0:
	.size	_Z15sort_key_kernelILj512ELj2EhN10test_utils4lessEEvPT1_T2_, .Lfunc_end0-_Z15sort_key_kernelILj512ELj2EhN10test_utils4lessEEvPT1_T2_
                                        ; -- End function
	.set _Z15sort_key_kernelILj512ELj2EhN10test_utils4lessEEvPT1_T2_.num_vgpr, 16
	.set _Z15sort_key_kernelILj512ELj2EhN10test_utils4lessEEvPT1_T2_.num_agpr, 0
	.set _Z15sort_key_kernelILj512ELj2EhN10test_utils4lessEEvPT1_T2_.numbered_sgpr, 5
	.set _Z15sort_key_kernelILj512ELj2EhN10test_utils4lessEEvPT1_T2_.num_named_barrier, 0
	.set _Z15sort_key_kernelILj512ELj2EhN10test_utils4lessEEvPT1_T2_.private_seg_size, 0
	.set _Z15sort_key_kernelILj512ELj2EhN10test_utils4lessEEvPT1_T2_.uses_vcc, 1
	.set _Z15sort_key_kernelILj512ELj2EhN10test_utils4lessEEvPT1_T2_.uses_flat_scratch, 0
	.set _Z15sort_key_kernelILj512ELj2EhN10test_utils4lessEEvPT1_T2_.has_dyn_sized_stack, 0
	.set _Z15sort_key_kernelILj512ELj2EhN10test_utils4lessEEvPT1_T2_.has_recursion, 0
	.set _Z15sort_key_kernelILj512ELj2EhN10test_utils4lessEEvPT1_T2_.has_indirect_call, 0
	.section	.AMDGPU.csdata,"",@progbits
; Kernel info:
; codeLenInByte = 4284
; TotalNumSgprs: 7
; NumVgprs: 16
; ScratchSize: 0
; MemoryBound: 0
; FloatMode: 240
; IeeeMode: 1
; LDSByteSize: 1025 bytes/workgroup (compile time only)
; SGPRBlocks: 0
; VGPRBlocks: 0
; NumSGPRsForWavesPerEU: 7
; NumVGPRsForWavesPerEU: 16
; NamedBarCnt: 0
; Occupancy: 16
; WaveLimiterHint : 0
; COMPUTE_PGM_RSRC2:SCRATCH_EN: 0
; COMPUTE_PGM_RSRC2:USER_SGPR: 2
; COMPUTE_PGM_RSRC2:TRAP_HANDLER: 0
; COMPUTE_PGM_RSRC2:TGID_X_EN: 1
; COMPUTE_PGM_RSRC2:TGID_Y_EN: 0
; COMPUTE_PGM_RSRC2:TGID_Z_EN: 0
; COMPUTE_PGM_RSRC2:TIDIG_COMP_CNT: 0
	.section	.text._Z15sort_key_kernelILj64ELj1EyN10test_utils4lessEEvPT1_T2_,"axG",@progbits,_Z15sort_key_kernelILj64ELj1EyN10test_utils4lessEEvPT1_T2_,comdat
	.protected	_Z15sort_key_kernelILj64ELj1EyN10test_utils4lessEEvPT1_T2_ ; -- Begin function _Z15sort_key_kernelILj64ELj1EyN10test_utils4lessEEvPT1_T2_
	.globl	_Z15sort_key_kernelILj64ELj1EyN10test_utils4lessEEvPT1_T2_
	.p2align	8
	.type	_Z15sort_key_kernelILj64ELj1EyN10test_utils4lessEEvPT1_T2_,@function
_Z15sort_key_kernelILj64ELj1EyN10test_utils4lessEEvPT1_T2_: ; @_Z15sort_key_kernelILj64ELj1EyN10test_utils4lessEEvPT1_T2_
; %bb.0:
	s_load_b64 s[0:1], s[0:1], 0x0
	s_bfe_u32 s2, ttmp6, 0x4000c
	s_and_b32 s3, ttmp6, 15
	s_add_co_i32 s2, s2, 1
	s_getreg_b32 s4, hwreg(HW_REG_IB_STS2, 6, 4)
	s_mul_i32 s2, ttmp9, s2
	v_dual_mov_b32 v3, 0 :: v_dual_bitop2_b32 v1, 62, v0 bitop3:0x40
	s_add_co_i32 s3, s3, s2
	s_cmp_eq_u32 s4, 0
	s_delay_alu instid0(VALU_DEP_1)
	v_dual_lshlrev_b32 v2, 3, v0 :: v_dual_lshlrev_b32 v9, 3, v1
	s_cselect_b32 s2, ttmp9, s3
	s_mov_b32 s3, 0
	s_lshl_b32 s2, s2, 6
	v_or_b32_e32 v7, 1, v1
	s_lshl_b64 s[4:5], s[2:3], 3
	v_and_b32_e32 v8, 1, v0
	s_mov_b32 s2, exec_lo
	s_delay_alu instid0(VALU_DEP_2)
	v_sub_nc_u32_e32 v5, v7, v1
	s_wait_kmcnt 0x0
	s_add_nc_u64 s[0:1], s[0:1], s[4:5]
	v_add_nc_u32_e32 v4, -1, v8
	global_load_b64 v[10:11], v0, s[0:1] scale_offset
	v_cmp_lt_i32_e32 vcc_lo, 0, v8
	s_wait_loadcnt 0x0
	s_barrier_signal -1
	s_barrier_wait -1
	v_dual_cndmask_b32 v6, 0, v4, vcc_lo :: v_dual_min_i32 v4, v8, v5
	ds_store_b64 v2, v[10:11]
	s_wait_dscnt 0x0
	s_barrier_signal -1
	s_barrier_wait -1
	s_wait_xcnt 0x0
	v_cmpx_lt_i32_e64 v6, v4
	s_cbranch_execz .LBB1_4
; %bb.1:
	v_lshlrev_b32_e32 v5, 3, v8
	s_delay_alu instid0(VALU_DEP_1)
	v_lshl_add_u32 v5, v7, 3, v5
.LBB1_2:                                ; =>This Inner Loop Header: Depth=1
	v_sub_nc_u32_e32 v10, v4, v6
	s_delay_alu instid0(VALU_DEP_1) | instskip(NEXT) | instid1(VALU_DEP_1)
	v_lshrrev_b32_e32 v10, 1, v10
	v_add_nc_u32_e32 v14, v10, v6
	s_delay_alu instid0(VALU_DEP_1) | instskip(SKIP_1) | instid1(VALU_DEP_2)
	v_not_b32_e32 v10, v14
	v_lshl_add_u32 v11, v14, 3, v9
	v_lshl_add_u32 v12, v10, 3, v5
	ds_load_b64 v[10:11], v11
	ds_load_b64 v[12:13], v12
	s_wait_dscnt 0x0
	v_cmp_lt_u64_e32 vcc_lo, v[12:13], v[10:11]
	v_add_nc_u32_e32 v10, 1, v14
	s_delay_alu instid0(VALU_DEP_1) | instskip(SKIP_1) | instid1(VALU_DEP_1)
	v_cndmask_b32_e32 v6, v10, v6, vcc_lo
	v_cndmask_b32_e32 v4, v4, v14, vcc_lo
	v_cmp_ge_i32_e32 vcc_lo, v6, v4
	s_or_b32 s3, vcc_lo, s3
	s_delay_alu instid0(SALU_CYCLE_1)
	s_and_not1_b32 exec_lo, exec_lo, s3
	s_cbranch_execnz .LBB1_2
; %bb.3:
	s_or_b32 exec_lo, exec_lo, s3
.LBB1_4:
	s_delay_alu instid0(SALU_CYCLE_1) | instskip(SKIP_3) | instid1(VALU_DEP_1)
	s_or_b32 exec_lo, exec_lo, s2
	v_add_nc_u64_e32 v[4:5], s[0:1], v[2:3]
	v_add_nc_u32_e32 v3, v7, v8
	s_mov_b32 s2, 0
	v_sub_nc_u32_e32 v10, v3, v6
	v_lshl_add_u32 v3, v6, 3, v9
	s_delay_alu instid0(VALU_DEP_2)
	v_lshlrev_b32_e32 v8, 3, v10
	ds_load_b64 v[12:13], v3
	ds_load_b64 v[14:15], v8
	v_dual_add_nc_u32 v9, v6, v1 :: v_dual_bitop2_b32 v3, 60, v0 bitop3:0x40
	v_cmp_ge_i32_e64 s1, v7, v10
	v_and_b32_e32 v8, 3, v0
	s_wait_dscnt 0x0
	s_delay_alu instid0(VALU_DEP_3) | instskip(SKIP_3) | instid1(VALU_DEP_2)
	v_dual_add_nc_u32 v1, 4, v3 :: v_dual_bitop2_b32 v6, 2, v3 bitop3:0x54
	v_cmp_le_i32_e32 vcc_lo, v7, v9
	s_barrier_signal -1
	s_barrier_wait -1
	v_dual_sub_nc_u32 v16, v6, v3 :: v_dual_sub_nc_u32 v11, v1, v6
	v_lshlrev_b32_e32 v9, 3, v3
	s_delay_alu instid0(VALU_DEP_2)
	v_dual_sub_nc_u32 v7, v8, v11 :: v_dual_min_i32 v10, v8, v16
	v_cmp_lt_u64_e64 s0, v[14:15], v[12:13]
	s_or_b32 s0, vcc_lo, s0
	v_cmp_ge_i32_e32 vcc_lo, v8, v11
	v_cndmask_b32_e32 v7, 0, v7, vcc_lo
	s_and_b32 vcc_lo, s1, s0
	s_mov_b32 s0, exec_lo
	v_dual_cndmask_b32 v13, v13, v15 :: v_dual_cndmask_b32 v12, v12, v14
	ds_store_b64 v2, v[12:13]
	s_wait_dscnt 0x0
	s_barrier_signal -1
	s_barrier_wait -1
	v_cmpx_lt_i32_e64 v7, v10
	s_cbranch_execz .LBB1_8
; %bb.5:
	v_lshlrev_b32_e32 v11, 3, v8
	s_delay_alu instid0(VALU_DEP_1)
	v_lshl_add_u32 v11, v6, 3, v11
.LBB1_6:                                ; =>This Inner Loop Header: Depth=1
	v_sub_nc_u32_e32 v12, v10, v7
	s_delay_alu instid0(VALU_DEP_1) | instskip(NEXT) | instid1(VALU_DEP_1)
	v_lshrrev_b32_e32 v12, 1, v12
	v_add_nc_u32_e32 v16, v12, v7
	s_delay_alu instid0(VALU_DEP_1) | instskip(SKIP_1) | instid1(VALU_DEP_2)
	v_not_b32_e32 v12, v16
	v_lshl_add_u32 v13, v16, 3, v9
	v_lshl_add_u32 v14, v12, 3, v11
	ds_load_b64 v[12:13], v13
	ds_load_b64 v[14:15], v14
	s_wait_dscnt 0x0
	v_cmp_lt_u64_e32 vcc_lo, v[14:15], v[12:13]
	v_add_nc_u32_e32 v12, 1, v16
	s_delay_alu instid0(VALU_DEP_1) | instskip(NEXT) | instid1(VALU_DEP_1)
	v_dual_cndmask_b32 v7, v12, v7 :: v_dual_cndmask_b32 v10, v10, v16
	v_cmp_ge_i32_e32 vcc_lo, v7, v10
	s_or_b32 s2, vcc_lo, s2
	s_delay_alu instid0(SALU_CYCLE_1)
	s_and_not1_b32 exec_lo, exec_lo, s2
	s_cbranch_execnz .LBB1_6
; %bb.7:
	s_or_b32 exec_lo, exec_lo, s2
.LBB1_8:
	s_delay_alu instid0(SALU_CYCLE_1) | instskip(SKIP_2) | instid1(VALU_DEP_1)
	s_or_b32 exec_lo, exec_lo, s0
	v_add_nc_u32_e32 v8, v6, v8
	s_mov_b32 s2, 0
	v_sub_nc_u32_e32 v10, v8, v7
	v_lshl_add_u32 v8, v7, 3, v9
	s_delay_alu instid0(VALU_DEP_2)
	v_lshlrev_b32_e32 v9, 3, v10
	ds_load_b64 v[12:13], v8
	ds_load_b64 v[14:15], v9
	v_dual_add_nc_u32 v11, v7, v3 :: v_dual_bitop2_b32 v8, 56, v0 bitop3:0x40
	v_cmp_gt_i32_e64 s1, v1, v10
	s_wait_dscnt 0x0
	s_barrier_signal -1
	s_delay_alu instid0(VALU_DEP_2) | instskip(SKIP_2) | instid1(VALU_DEP_2)
	v_dual_add_nc_u32 v3, 8, v8 :: v_dual_bitop2_b32 v7, 4, v8 bitop3:0x54
	v_cmp_le_i32_e32 vcc_lo, v6, v11
	s_barrier_wait -1
	v_sub_nc_u32_e32 v16, v7, v8
	s_delay_alu instid0(VALU_DEP_3) | instskip(NEXT) | instid1(VALU_DEP_1)
	v_dual_sub_nc_u32 v11, v3, v7 :: v_dual_bitop2_b32 v9, 7, v0 bitop3:0x40
	v_dual_lshlrev_b32 v6, 3, v8 :: v_dual_sub_nc_u32 v1, v9, v11
	v_cmp_lt_u64_e64 s0, v[14:15], v[12:13]
	s_or_b32 s0, vcc_lo, s0
	v_cmp_ge_i32_e32 vcc_lo, v9, v11
	v_dual_cndmask_b32 v1, 0, v1 :: v_dual_min_i32 v10, v9, v16
	s_and_b32 vcc_lo, s1, s0
	s_mov_b32 s0, exec_lo
	v_dual_cndmask_b32 v13, v13, v15 :: v_dual_cndmask_b32 v12, v12, v14
	ds_store_b64 v2, v[12:13]
	s_wait_dscnt 0x0
	s_barrier_signal -1
	s_barrier_wait -1
	v_cmpx_lt_i32_e64 v1, v10
	s_cbranch_execz .LBB1_12
; %bb.9:
	v_lshlrev_b32_e32 v11, 3, v9
	s_delay_alu instid0(VALU_DEP_1)
	v_lshl_add_u32 v11, v7, 3, v11
.LBB1_10:                               ; =>This Inner Loop Header: Depth=1
	v_sub_nc_u32_e32 v12, v10, v1
	s_delay_alu instid0(VALU_DEP_1) | instskip(NEXT) | instid1(VALU_DEP_1)
	v_lshrrev_b32_e32 v12, 1, v12
	v_add_nc_u32_e32 v16, v12, v1
	s_delay_alu instid0(VALU_DEP_1) | instskip(SKIP_1) | instid1(VALU_DEP_2)
	v_not_b32_e32 v12, v16
	v_lshl_add_u32 v13, v16, 3, v6
	v_lshl_add_u32 v14, v12, 3, v11
	ds_load_b64 v[12:13], v13
	ds_load_b64 v[14:15], v14
	s_wait_dscnt 0x0
	v_cmp_lt_u64_e32 vcc_lo, v[14:15], v[12:13]
	v_add_nc_u32_e32 v12, 1, v16
	s_delay_alu instid0(VALU_DEP_1) | instskip(NEXT) | instid1(VALU_DEP_1)
	v_dual_cndmask_b32 v1, v12, v1 :: v_dual_cndmask_b32 v10, v10, v16
	v_cmp_ge_i32_e32 vcc_lo, v1, v10
	s_or_b32 s2, vcc_lo, s2
	s_delay_alu instid0(SALU_CYCLE_1)
	s_and_not1_b32 exec_lo, exec_lo, s2
	s_cbranch_execnz .LBB1_10
; %bb.11:
	s_or_b32 exec_lo, exec_lo, s2
.LBB1_12:
	s_delay_alu instid0(SALU_CYCLE_1) | instskip(SKIP_3) | instid1(VALU_DEP_2)
	s_or_b32 exec_lo, exec_lo, s0
	v_dual_add_nc_u32 v9, v7, v9 :: v_dual_add_nc_u32 v11, v1, v8
	v_lshl_add_u32 v6, v1, 3, v6
	s_mov_b32 s2, 0
	v_dual_sub_nc_u32 v10, v9, v1 :: v_dual_bitop2_b32 v8, 15, v0 bitop3:0x40
	s_delay_alu instid0(VALU_DEP_3) | instskip(NEXT) | instid1(VALU_DEP_2)
	v_cmp_le_i32_e32 vcc_lo, v7, v11
	v_lshlrev_b32_e32 v9, 3, v10
	ds_load_b64 v[12:13], v6
	ds_load_b64 v[14:15], v9
	v_and_b32_e32 v9, 48, v0
	v_cmp_gt_i32_e64 s1, v3, v10
	s_wait_dscnt 0x0
	s_barrier_signal -1
	s_barrier_wait -1
	v_dual_add_nc_u32 v1, 16, v9 :: v_dual_bitop2_b32 v6, 8, v9 bitop3:0x54
	s_delay_alu instid0(VALU_DEP_1) | instskip(NEXT) | instid1(VALU_DEP_1)
	v_dual_sub_nc_u32 v16, v6, v9 :: v_dual_sub_nc_u32 v11, v1, v6
	v_dual_lshlrev_b32 v7, 3, v9 :: v_dual_sub_nc_u32 v3, v8, v11
	v_cmp_lt_u64_e64 s0, v[14:15], v[12:13]
	s_or_b32 s0, vcc_lo, s0
	v_cmp_ge_i32_e32 vcc_lo, v8, v11
	v_dual_cndmask_b32 v3, 0, v3 :: v_dual_min_i32 v10, v8, v16
	s_and_b32 vcc_lo, s1, s0
	s_mov_b32 s0, exec_lo
	v_dual_cndmask_b32 v13, v13, v15 :: v_dual_cndmask_b32 v12, v12, v14
	ds_store_b64 v2, v[12:13]
	s_wait_dscnt 0x0
	s_barrier_signal -1
	s_barrier_wait -1
	v_cmpx_lt_i32_e64 v3, v10
	s_cbranch_execz .LBB1_16
; %bb.13:
	v_lshlrev_b32_e32 v11, 3, v8
	s_delay_alu instid0(VALU_DEP_1)
	v_lshl_add_u32 v11, v6, 3, v11
.LBB1_14:                               ; =>This Inner Loop Header: Depth=1
	v_sub_nc_u32_e32 v12, v10, v3
	s_delay_alu instid0(VALU_DEP_1) | instskip(NEXT) | instid1(VALU_DEP_1)
	v_lshrrev_b32_e32 v12, 1, v12
	v_add_nc_u32_e32 v16, v12, v3
	s_delay_alu instid0(VALU_DEP_1) | instskip(SKIP_1) | instid1(VALU_DEP_2)
	v_not_b32_e32 v12, v16
	v_lshl_add_u32 v13, v16, 3, v7
	v_lshl_add_u32 v14, v12, 3, v11
	ds_load_b64 v[12:13], v13
	ds_load_b64 v[14:15], v14
	s_wait_dscnt 0x0
	v_cmp_lt_u64_e32 vcc_lo, v[14:15], v[12:13]
	v_add_nc_u32_e32 v12, 1, v16
	s_delay_alu instid0(VALU_DEP_1) | instskip(NEXT) | instid1(VALU_DEP_1)
	v_dual_cndmask_b32 v3, v12, v3 :: v_dual_cndmask_b32 v10, v10, v16
	v_cmp_ge_i32_e32 vcc_lo, v3, v10
	s_or_b32 s2, vcc_lo, s2
	s_delay_alu instid0(SALU_CYCLE_1)
	s_and_not1_b32 exec_lo, exec_lo, s2
	s_cbranch_execnz .LBB1_14
; %bb.15:
	s_or_b32 exec_lo, exec_lo, s2
.LBB1_16:
	s_delay_alu instid0(SALU_CYCLE_1) | instskip(SKIP_3) | instid1(VALU_DEP_2)
	s_or_b32 exec_lo, exec_lo, s0
	v_dual_add_nc_u32 v8, v6, v8 :: v_dual_add_nc_u32 v11, v3, v9
	v_lshl_add_u32 v7, v3, 3, v7
	s_mov_b32 s2, 0
	v_dual_sub_nc_u32 v10, v8, v3 :: v_dual_bitop2_b32 v9, 31, v0 bitop3:0x40
	s_delay_alu instid0(VALU_DEP_3) | instskip(NEXT) | instid1(VALU_DEP_2)
	v_cmp_le_i32_e32 vcc_lo, v6, v11
	v_lshlrev_b32_e32 v8, 3, v10
	ds_load_b64 v[12:13], v7
	ds_load_b64 v[14:15], v8
	v_and_b32_e32 v8, 32, v0
	v_cmp_gt_i32_e64 s1, v1, v10
	s_wait_dscnt 0x0
	s_barrier_signal -1
	s_barrier_wait -1
	v_dual_add_nc_u32 v3, 32, v8 :: v_dual_bitop2_b32 v7, 16, v8 bitop3:0x54
	s_delay_alu instid0(VALU_DEP_1) | instskip(NEXT) | instid1(VALU_DEP_1)
	v_dual_lshlrev_b32 v6, 3, v8 :: v_dual_sub_nc_u32 v11, v3, v7
	v_dual_sub_nc_u32 v16, v7, v8 :: v_dual_sub_nc_u32 v1, v9, v11
	v_cmp_lt_u64_e64 s0, v[14:15], v[12:13]
	s_or_b32 s0, vcc_lo, s0
	v_cmp_ge_i32_e32 vcc_lo, v9, v11
	v_dual_cndmask_b32 v1, 0, v1 :: v_dual_min_i32 v10, v9, v16
	s_and_b32 vcc_lo, s1, s0
	s_mov_b32 s0, exec_lo
	v_dual_cndmask_b32 v13, v13, v15 :: v_dual_cndmask_b32 v12, v12, v14
	ds_store_b64 v2, v[12:13]
	s_wait_dscnt 0x0
	s_barrier_signal -1
	s_barrier_wait -1
	v_cmpx_lt_i32_e64 v1, v10
	s_cbranch_execz .LBB1_20
; %bb.17:
	v_lshlrev_b32_e32 v11, 3, v9
	s_delay_alu instid0(VALU_DEP_1)
	v_lshl_add_u32 v11, v7, 3, v11
.LBB1_18:                               ; =>This Inner Loop Header: Depth=1
	v_sub_nc_u32_e32 v12, v10, v1
	s_delay_alu instid0(VALU_DEP_1) | instskip(NEXT) | instid1(VALU_DEP_1)
	v_lshrrev_b32_e32 v12, 1, v12
	v_add_nc_u32_e32 v16, v12, v1
	s_delay_alu instid0(VALU_DEP_1) | instskip(SKIP_1) | instid1(VALU_DEP_2)
	v_not_b32_e32 v12, v16
	v_lshl_add_u32 v13, v16, 3, v6
	v_lshl_add_u32 v14, v12, 3, v11
	ds_load_b64 v[12:13], v13
	ds_load_b64 v[14:15], v14
	s_wait_dscnt 0x0
	v_cmp_lt_u64_e32 vcc_lo, v[14:15], v[12:13]
	v_add_nc_u32_e32 v12, 1, v16
	s_delay_alu instid0(VALU_DEP_1) | instskip(NEXT) | instid1(VALU_DEP_1)
	v_dual_cndmask_b32 v1, v12, v1 :: v_dual_cndmask_b32 v10, v10, v16
	v_cmp_ge_i32_e32 vcc_lo, v1, v10
	s_or_b32 s2, vcc_lo, s2
	s_delay_alu instid0(SALU_CYCLE_1)
	s_and_not1_b32 exec_lo, exec_lo, s2
	s_cbranch_execnz .LBB1_18
; %bb.19:
	s_or_b32 exec_lo, exec_lo, s2
.LBB1_20:
	s_delay_alu instid0(SALU_CYCLE_1) | instskip(SKIP_2) | instid1(VALU_DEP_2)
	s_or_b32 exec_lo, exec_lo, s0
	v_add_nc_u32_e32 v9, v7, v9
	v_lshl_add_u32 v6, v1, 3, v6
	v_sub_nc_u32_e32 v9, v9, v1
	s_delay_alu instid0(VALU_DEP_1)
	v_lshlrev_b32_e32 v12, 3, v9
	ds_load_b64 v[10:11], v6
	ds_load_b64 v[12:13], v12
	v_add_nc_u32_e32 v6, v1, v8
	v_sub_nc_u32_e64 v1, v0, 32 clamp
	s_wait_dscnt 0x0
	s_barrier_signal -1
	s_barrier_wait -1
	v_cmp_le_i32_e64 s0, v7, v6
	v_min_i32_e32 v6, 32, v0
	v_cmp_gt_i32_e64 s1, v3, v9
	v_cmp_lt_u64_e32 vcc_lo, v[12:13], v[10:11]
	s_or_b32 s0, s0, vcc_lo
	s_delay_alu instid0(SALU_CYCLE_1) | instskip(NEXT) | instid1(SALU_CYCLE_1)
	s_and_b32 s0, s1, s0
	v_dual_cndmask_b32 v9, v11, v13, s0 :: v_dual_cndmask_b32 v8, v10, v12, s0
	s_mov_b32 s0, exec_lo
	ds_store_b64 v2, v[8:9]
	s_wait_dscnt 0x0
	s_barrier_signal -1
	s_barrier_wait -1
	v_cmpx_lt_i32_e64 v1, v6
	s_cbranch_execz .LBB1_24
; %bb.21:
	v_lshl_add_u32 v2, 32, 3, v2
	s_mov_b32 s1, 0
.LBB1_22:                               ; =>This Inner Loop Header: Depth=1
	v_sub_nc_u32_e32 v3, v6, v1
	s_delay_alu instid0(VALU_DEP_1) | instskip(NEXT) | instid1(VALU_DEP_1)
	v_lshrrev_b32_e32 v3, 1, v3
	v_add_nc_u32_e32 v3, v3, v1
	s_delay_alu instid0(VALU_DEP_1) | instskip(SKIP_1) | instid1(VALU_DEP_2)
	v_not_b32_e32 v7, v3
	v_lshlrev_b32_e32 v8, 3, v3
	v_lshl_add_u32 v7, v7, 3, v2
	ds_load_b64 v[8:9], v8
	ds_load_b64 v[10:11], v7
	v_add_nc_u32_e32 v7, 1, v3
	s_wait_dscnt 0x0
	v_cmp_lt_u64_e32 vcc_lo, v[10:11], v[8:9]
	s_delay_alu instid0(VALU_DEP_2) | instskip(NEXT) | instid1(VALU_DEP_1)
	v_dual_cndmask_b32 v6, v6, v3 :: v_dual_cndmask_b32 v1, v7, v1
	v_cmp_ge_i32_e32 vcc_lo, v1, v6
	s_or_b32 s1, vcc_lo, s1
	s_delay_alu instid0(SALU_CYCLE_1)
	s_and_not1_b32 exec_lo, exec_lo, s1
	s_cbranch_execnz .LBB1_22
; %bb.23:
	s_or_b32 exec_lo, exec_lo, s1
.LBB1_24:
	s_delay_alu instid0(SALU_CYCLE_1) | instskip(SKIP_2) | instid1(VALU_DEP_2)
	s_or_b32 exec_lo, exec_lo, s0
	v_dual_add_nc_u32 v0, 32, v0 :: v_dual_lshlrev_b32 v2, 3, v1
	v_cmp_le_i32_e64 s0, 32, v1
	v_sub_nc_u32_e32 v0, v0, v1
	s_delay_alu instid0(VALU_DEP_1)
	v_lshlrev_b32_e32 v6, 3, v0
	v_cmp_gt_i32_e64 s1, 64, v0
	ds_load_b64 v[2:3], v2
	ds_load_b64 v[6:7], v6
	s_wait_dscnt 0x0
	v_cmp_lt_u64_e32 vcc_lo, v[6:7], v[2:3]
	s_or_b32 s0, s0, vcc_lo
	s_delay_alu instid0(SALU_CYCLE_1)
	s_and_b32 vcc_lo, s1, s0
	v_dual_cndmask_b32 v1, v3, v7 :: v_dual_cndmask_b32 v0, v2, v6
	global_store_b64 v[4:5], v[0:1], off
	s_endpgm
	.section	.rodata,"a",@progbits
	.p2align	6, 0x0
	.amdhsa_kernel _Z15sort_key_kernelILj64ELj1EyN10test_utils4lessEEvPT1_T2_
		.amdhsa_group_segment_fixed_size 520
		.amdhsa_private_segment_fixed_size 0
		.amdhsa_kernarg_size 12
		.amdhsa_user_sgpr_count 2
		.amdhsa_user_sgpr_dispatch_ptr 0
		.amdhsa_user_sgpr_queue_ptr 0
		.amdhsa_user_sgpr_kernarg_segment_ptr 1
		.amdhsa_user_sgpr_dispatch_id 0
		.amdhsa_user_sgpr_kernarg_preload_length 0
		.amdhsa_user_sgpr_kernarg_preload_offset 0
		.amdhsa_user_sgpr_private_segment_size 0
		.amdhsa_wavefront_size32 1
		.amdhsa_uses_dynamic_stack 0
		.amdhsa_enable_private_segment 0
		.amdhsa_system_sgpr_workgroup_id_x 1
		.amdhsa_system_sgpr_workgroup_id_y 0
		.amdhsa_system_sgpr_workgroup_id_z 0
		.amdhsa_system_sgpr_workgroup_info 0
		.amdhsa_system_vgpr_workitem_id 0
		.amdhsa_next_free_vgpr 17
		.amdhsa_next_free_sgpr 6
		.amdhsa_named_barrier_count 0
		.amdhsa_reserve_vcc 1
		.amdhsa_float_round_mode_32 0
		.amdhsa_float_round_mode_16_64 0
		.amdhsa_float_denorm_mode_32 3
		.amdhsa_float_denorm_mode_16_64 3
		.amdhsa_fp16_overflow 0
		.amdhsa_memory_ordered 1
		.amdhsa_forward_progress 1
		.amdhsa_inst_pref_size 16
		.amdhsa_round_robin_scheduling 0
		.amdhsa_exception_fp_ieee_invalid_op 0
		.amdhsa_exception_fp_denorm_src 0
		.amdhsa_exception_fp_ieee_div_zero 0
		.amdhsa_exception_fp_ieee_overflow 0
		.amdhsa_exception_fp_ieee_underflow 0
		.amdhsa_exception_fp_ieee_inexact 0
		.amdhsa_exception_int_div_zero 0
	.end_amdhsa_kernel
	.section	.text._Z15sort_key_kernelILj64ELj1EyN10test_utils4lessEEvPT1_T2_,"axG",@progbits,_Z15sort_key_kernelILj64ELj1EyN10test_utils4lessEEvPT1_T2_,comdat
.Lfunc_end1:
	.size	_Z15sort_key_kernelILj64ELj1EyN10test_utils4lessEEvPT1_T2_, .Lfunc_end1-_Z15sort_key_kernelILj64ELj1EyN10test_utils4lessEEvPT1_T2_
                                        ; -- End function
	.set _Z15sort_key_kernelILj64ELj1EyN10test_utils4lessEEvPT1_T2_.num_vgpr, 17
	.set _Z15sort_key_kernelILj64ELj1EyN10test_utils4lessEEvPT1_T2_.num_agpr, 0
	.set _Z15sort_key_kernelILj64ELj1EyN10test_utils4lessEEvPT1_T2_.numbered_sgpr, 6
	.set _Z15sort_key_kernelILj64ELj1EyN10test_utils4lessEEvPT1_T2_.num_named_barrier, 0
	.set _Z15sort_key_kernelILj64ELj1EyN10test_utils4lessEEvPT1_T2_.private_seg_size, 0
	.set _Z15sort_key_kernelILj64ELj1EyN10test_utils4lessEEvPT1_T2_.uses_vcc, 1
	.set _Z15sort_key_kernelILj64ELj1EyN10test_utils4lessEEvPT1_T2_.uses_flat_scratch, 0
	.set _Z15sort_key_kernelILj64ELj1EyN10test_utils4lessEEvPT1_T2_.has_dyn_sized_stack, 0
	.set _Z15sort_key_kernelILj64ELj1EyN10test_utils4lessEEvPT1_T2_.has_recursion, 0
	.set _Z15sort_key_kernelILj64ELj1EyN10test_utils4lessEEvPT1_T2_.has_indirect_call, 0
	.section	.AMDGPU.csdata,"",@progbits
; Kernel info:
; codeLenInByte = 2004
; TotalNumSgprs: 8
; NumVgprs: 17
; ScratchSize: 0
; MemoryBound: 0
; FloatMode: 240
; IeeeMode: 1
; LDSByteSize: 520 bytes/workgroup (compile time only)
; SGPRBlocks: 0
; VGPRBlocks: 1
; NumSGPRsForWavesPerEU: 8
; NumVGPRsForWavesPerEU: 17
; NamedBarCnt: 0
; Occupancy: 16
; WaveLimiterHint : 0
; COMPUTE_PGM_RSRC2:SCRATCH_EN: 0
; COMPUTE_PGM_RSRC2:USER_SGPR: 2
; COMPUTE_PGM_RSRC2:TRAP_HANDLER: 0
; COMPUTE_PGM_RSRC2:TGID_X_EN: 1
; COMPUTE_PGM_RSRC2:TGID_Y_EN: 0
; COMPUTE_PGM_RSRC2:TGID_Z_EN: 0
; COMPUTE_PGM_RSRC2:TIDIG_COMP_CNT: 0
	.section	.text._Z15sort_key_kernelILj256ELj7EtN10test_utils4lessEEvPT1_T2_,"axG",@progbits,_Z15sort_key_kernelILj256ELj7EtN10test_utils4lessEEvPT1_T2_,comdat
	.protected	_Z15sort_key_kernelILj256ELj7EtN10test_utils4lessEEvPT1_T2_ ; -- Begin function _Z15sort_key_kernelILj256ELj7EtN10test_utils4lessEEvPT1_T2_
	.globl	_Z15sort_key_kernelILj256ELj7EtN10test_utils4lessEEvPT1_T2_
	.p2align	8
	.type	_Z15sort_key_kernelILj256ELj7EtN10test_utils4lessEEvPT1_T2_,@function
_Z15sort_key_kernelILj256ELj7EtN10test_utils4lessEEvPT1_T2_: ; @_Z15sort_key_kernelILj256ELj7EtN10test_utils4lessEEvPT1_T2_
; %bb.0:
	s_load_b64 s[0:1], s[0:1], 0x0
	s_bfe_u32 s2, ttmp6, 0x4000c
	s_and_b32 s3, ttmp6, 15
	s_add_co_i32 s2, s2, 1
	s_getreg_b32 s4, hwreg(HW_REG_IB_STS2, 6, 4)
	s_mul_i32 s2, ttmp9, s2
	v_mul_u32_u24_e32 v1, 7, v0
	s_add_co_i32 s3, s3, s2
	s_cmp_eq_u32 s4, 0
	s_mov_b32 s5, 0
	s_cselect_b32 s2, ttmp9, s3
	v_dual_lshlrev_b32 v2, 1, v1 :: v_dual_bitop2_b32 v10, 1, v0 bitop3:0x40
	s_mul_i32 s4, s2, 0x700
	v_and_b32_e32 v3, 0xfe, v0
	s_lshl_b64 s[2:3], s[4:5], 1
	s_delay_alu instid0(VALU_DEP_2) | instskip(NEXT) | instid1(VALU_DEP_2)
	v_cmp_eq_u32_e32 vcc_lo, 1, v10
	v_mul_u32_u24_e32 v3, 7, v3
	s_wait_kmcnt 0x0
	s_add_nc_u64 s[2:3], s[0:1], s[2:3]
	s_clause 0x1
	global_load_b96 v[14:16], v2, s[2:3]
	global_load_u16 v5, v1, s[2:3] offset:12 scale_offset
	v_cndmask_b32_e64 v10, 0, 7, vcc_lo
	v_min_u32_e32 v8, 0x6f9, v3
	v_min_u32_e32 v4, 0x6f2, v3
	;; [unrolled: 1-line block ×3, first 2 shown]
	v_mov_b32_e32 v3, 0
	s_wait_loadcnt 0x0
	v_add_nc_u32_e32 v7, 7, v8
	s_delay_alu instid0(VALU_DEP_3) | instskip(SKIP_2) | instid1(VALU_DEP_1)
	v_dual_add_nc_u32 v6, 14, v4 :: v_dual_lshlrev_b32 v11, 1, v9
	s_barrier_signal -1
	s_barrier_wait -1
	v_dual_sub_nc_u32 v4, v7, v9 :: v_dual_sub_nc_u32 v12, v6, v7
	s_delay_alu instid0(VALU_DEP_1) | instskip(SKIP_1) | instid1(VALU_DEP_3)
	v_sub_nc_u32_e32 v13, v10, v12
	v_cmp_ge_i32_e32 vcc_lo, v10, v12
	v_dual_lshrrev_b32 v19, 16, v15 :: v_dual_min_i32 v4, v10, v4
	s_delay_alu instid0(VALU_DEP_3)
	v_dual_cndmask_b32 v12, 0, v13 :: v_dual_lshrrev_b32 v13, 16, v14
	v_lshrrev_b32_e32 v21, 16, v16
	v_alignbit_b32 v18, v14, v14, 16
	v_alignbit_b32 v20, v15, v15, 16
	;; [unrolled: 1-line block ×3, first 2 shown]
	v_cmp_lt_u16_e32 vcc_lo, v13, v14
	v_min_u16 v23, v13, v14
	v_max_u16 v13, v13, v14
	v_and_b32_e32 v17, 0xffff, v5
	v_cndmask_b32_e32 v18, v14, v18, vcc_lo
	v_cmp_lt_u16_e32 vcc_lo, v19, v15
	v_cndmask_b32_e32 v14, v15, v20, vcc_lo
	v_max_u16 v20, v19, v15
	v_min_u16 v15, v19, v15
	v_cmp_lt_u16_e32 vcc_lo, v21, v16
	s_delay_alu instid0(VALU_DEP_4) | instskip(NEXT) | instid1(VALU_DEP_3)
	v_bfi_b32 v24, 0xffff, v13, v14
	v_max_u16 v25, v15, v13
	v_cndmask_b32_e32 v19, v16, v22, vcc_lo
	v_max_u16 v22, v21, v16
	v_min_u16 v16, v21, v16
	v_perm_b32 v21, v15, v18, 0x5040100
	v_cmp_lt_u16_e32 vcc_lo, v15, v13
	v_min_u16 v13, v15, v13
	v_max_u16 v30, v5, v22
	v_max_u16 v27, v16, v20
	v_min_u16 v28, v16, v20
	v_cndmask_b32_e32 v18, v18, v21, vcc_lo
	v_cndmask_b32_e32 v14, v14, v24, vcc_lo
	v_cmp_lt_u16_e32 vcc_lo, v15, v23
	v_bfi_b32 v26, 0xffff, v20, v19
	v_perm_b32 v21, v23, v13, 0x5040100
	v_cmp_lt_u16_e64 s0, v16, v20
	v_perm_b32 v15, v25, v28, 0x5040100
	v_cndmask_b32_e32 v20, v23, v13, vcc_lo
	v_perm_b32 v34, v16, v14, 0x5040100
	s_delay_alu instid0(VALU_DEP_4) | instskip(SKIP_2) | instid1(VALU_DEP_4)
	v_dual_cndmask_b32 v18, v18, v21, vcc_lo :: v_dual_cndmask_b32 v19, v19, v26, s0
	v_cndmask_b32_e32 v13, v13, v23, vcc_lo
	v_cmp_lt_u16_e32 vcc_lo, v28, v25
	v_cndmask_b32_e64 v14, v14, v34, s0
	v_min_u16 v32, v28, v25
	v_perm_b32 v21, v5, v19, 0x5040100
	v_cmp_lt_u16_e64 s0, v5, v22
	v_min_u16 v31, v5, v22
	v_cndmask_b32_e32 v14, v14, v15, vcc_lo
	v_max_u16 v24, v28, v25
	v_perm_b32 v23, v32, v18, 0x5040100
	v_cmp_lt_u16_e32 vcc_lo, v32, v13
	v_cndmask_b32_e64 v5, v19, v21, s0
	v_bfi_b32 v25, 0xffff, v13, v14
	v_perm_b32 v33, v27, v31, 0x5040100
	v_min_u16 v16, v31, v27
	v_cndmask_b32_e32 v18, v18, v23, vcc_lo
	v_and_b32_e32 v29, 0xffff, v22
	v_cndmask_b32_e32 v14, v14, v25, vcc_lo
	v_cmp_lt_u16_e32 vcc_lo, v31, v27
	v_max_u16 v15, v16, v24
	v_min_u16 v19, v16, v24
	v_min_u16 v21, v32, v13
	v_perm_b32 v22, v16, v14, 0x5040100
	v_cndmask_b32_e32 v5, v5, v33, vcc_lo
	v_cmp_lt_u16_e32 vcc_lo, v16, v24
	v_max_u16 v13, v32, v13
	v_perm_b32 v23, v20, v21, 0x5040100
	v_cndmask_b32_e64 v17, v17, v29, s0
	v_bfi_b32 v16, 0xffff, v24, v5
	v_cmp_lt_u16_e64 s0, v21, v20
	v_max_u16 v35, v31, v27
	v_max_u16 v25, v21, v20
	v_min_u16 v26, v19, v13
	v_dual_cndmask_b32 v5, v5, v16 :: v_dual_cndmask_b32 v14, v14, v22
	v_perm_b32 v16, v13, v19, 0x5040100
	v_cmp_gt_u16_e32 vcc_lo, v27, v30
	v_max_u16 v22, v19, v13
	s_delay_alu instid0(VALU_DEP_4)
	v_perm_b32 v28, v30, v5, 0x5040100
	v_cndmask_b32_e64 v18, v18, v23, s0
	v_cmp_lt_u16_e64 s0, v19, v13
	v_min_u16 v24, v21, v20
	v_min_u16 v19, v26, v25
	v_cndmask_b32_e32 v5, v5, v28, vcc_lo
	v_bfi_b32 v21, 0xffff, v35, v17
	v_dual_cndmask_b32 v13, v14, v16, s0 :: v_dual_cndmask_b32 v14, v35, v30, vcc_lo
	v_cmp_lt_u16_e64 s0, v26, v25
	v_max_u16 v16, v26, v25
	v_perm_b32 v19, v24, v19, 0x5040100
	s_delay_alu instid0(VALU_DEP_4)
	v_bfi_b32 v20, 0xffff, v25, v13
	v_perm_b32 v23, v15, v14, 0x5040100
	v_cmp_lt_u16_e64 s1, v14, v15
	v_min_u16 v27, v14, v15
	v_max_u16 v14, v14, v15
	v_cndmask_b32_e64 v13, v13, v20, s0
	v_perm_b32 v20, v26, v18, 0x5040100
	v_cndmask_b32_e64 v5, v5, v23, s1
	v_cmp_lt_u16_e64 s1, v27, v22
	v_min_u16 v15, v27, v22
	s_delay_alu instid0(VALU_DEP_4) | instskip(NEXT) | instid1(VALU_DEP_4)
	v_cndmask_b32_e64 v18, v18, v20, s0
	v_bfi_b32 v25, 0xffff, v22, v5
	v_cmp_lt_u16_e64 s0, v26, v24
	v_dual_cndmask_b32 v17, v17, v21, vcc_lo :: v_dual_cndmask_b32 v21, v30, v35, vcc_lo
	v_perm_b32 v23, v27, v13, 0x5040100
	s_delay_alu instid0(VALU_DEP_4) | instskip(NEXT) | instid1(VALU_DEP_3)
	v_cndmask_b32_e64 v5, v5, v25, s1
	v_bfi_b32 v25, 0xffff, v14, v17
	s_delay_alu instid0(VALU_DEP_4) | instskip(NEXT) | instid1(VALU_DEP_4)
	v_cmp_lt_u16_e32 vcc_lo, v21, v14
	v_cndmask_b32_e64 v13, v13, v23, s1
	v_max_u16 v23, v27, v22
	v_min_u16 v22, v21, v14
	v_perm_b32 v20, v21, v5, 0x5040100
	v_perm_b32 v27, v16, v15, 0x5040100
	v_cndmask_b32_e64 v14, v18, v19, s0
	v_cmp_lt_u16_e64 s0, v15, v16
	v_perm_b32 v28, v23, v22, 0x5040100
	v_cndmask_b32_e32 v5, v5, v20, vcc_lo
	s_delay_alu instid0(VALU_DEP_3) | instskip(SKIP_1) | instid1(VALU_DEP_1)
	v_cndmask_b32_e64 v15, v13, v27, s0
	v_cmp_lt_u16_e64 s0, v22, v23
	v_cndmask_b32_e64 v16, v5, v28, s0
	v_cndmask_b32_e32 v5, v17, v25, vcc_lo
	s_mov_b32 s0, exec_lo
	ds_store_b96 v2, v[14:16]
	ds_store_b16 v2, v5 offset:12
	s_wait_dscnt 0x0
	s_barrier_signal -1
	s_barrier_wait -1
	s_wait_xcnt 0x0
	v_cmpx_lt_i32_e64 v12, v4
	s_cbranch_execz .LBB2_4
; %bb.1:
	v_lshlrev_b32_e32 v5, 1, v10
	s_delay_alu instid0(VALU_DEP_1)
	v_lshl_add_u32 v5, v8, 1, v5
.LBB2_2:                                ; =>This Inner Loop Header: Depth=1
	v_sub_nc_u32_e32 v13, v4, v12
	s_delay_alu instid0(VALU_DEP_1) | instskip(NEXT) | instid1(VALU_DEP_1)
	v_lshrrev_b32_e32 v13, 1, v13
	v_add_nc_u32_e32 v13, v13, v12
	s_delay_alu instid0(VALU_DEP_1) | instskip(SKIP_1) | instid1(VALU_DEP_2)
	v_not_b32_e32 v14, v13
	v_lshl_add_u32 v15, v13, 1, v11
	v_lshl_add_u32 v14, v14, 1, v5
	ds_load_u16 v15, v15
	ds_load_u16 v14, v14 offset:14
	s_wait_dscnt 0x0
	v_cmp_lt_u16_e32 vcc_lo, v14, v15
	v_dual_add_nc_u32 v16, 1, v13 :: v_dual_cndmask_b32 v4, v4, v13, vcc_lo
	s_delay_alu instid0(VALU_DEP_1) | instskip(NEXT) | instid1(VALU_DEP_1)
	v_cndmask_b32_e32 v12, v16, v12, vcc_lo
	v_cmp_ge_i32_e32 vcc_lo, v12, v4
	s_or_b32 s5, vcc_lo, s5
	s_delay_alu instid0(SALU_CYCLE_1)
	s_and_not1_b32 exec_lo, exec_lo, s5
	s_cbranch_execnz .LBB2_2
; %bb.3:
	s_or_b32 exec_lo, exec_lo, s5
.LBB2_4:
	s_delay_alu instid0(SALU_CYCLE_1) | instskip(SKIP_4) | instid1(VALU_DEP_3)
	s_or_b32 exec_lo, exec_lo, s0
	v_add_nc_u64_e32 v[4:5], s[2:3], v[2:3]
	v_dual_add_nc_u32 v3, v8, v10 :: v_dual_add_nc_u32 v10, v7, v10
	v_lshl_add_u32 v14, v12, 1, v11
	v_add_nc_u32_e32 v11, v12, v9
                                        ; implicit-def: $vgpr9
	v_dual_sub_nc_u32 v3, v3, v12 :: v_dual_sub_nc_u32 v12, v10, v12
	s_delay_alu instid0(VALU_DEP_2) | instskip(NEXT) | instid1(VALU_DEP_2)
	v_cmp_le_i32_e32 vcc_lo, v7, v11
	v_lshlrev_b32_e32 v13, 1, v3
	ds_load_u16 v3, v14
	ds_load_u16 v8, v13 offset:14
	v_cmp_gt_i32_e64 s1, v6, v12
	s_wait_dscnt 0x0
	v_cmp_lt_u16_e64 s0, v8, v3
	s_or_b32 s0, vcc_lo, s0
	s_delay_alu instid0(SALU_CYCLE_1) | instskip(NEXT) | instid1(SALU_CYCLE_1)
	s_and_b32 vcc_lo, s1, s0
	s_xor_b32 s0, vcc_lo, -1
	s_delay_alu instid0(SALU_CYCLE_1) | instskip(NEXT) | instid1(SALU_CYCLE_1)
	s_and_saveexec_b32 s1, s0
	s_xor_b32 s0, exec_lo, s1
; %bb.5:
	ds_load_u16 v9, v14 offset:2
                                        ; implicit-def: $vgpr13
; %bb.6:
	s_or_saveexec_b32 s0, s0
	v_mov_b32_e32 v10, v8
	s_xor_b32 exec_lo, exec_lo, s0
	s_cbranch_execz .LBB2_8
; %bb.7:
	ds_load_u16 v10, v13 offset:16
	s_wait_dscnt 0x1
	v_mov_b32_e32 v9, v3
.LBB2_8:
	s_or_b32 exec_lo, exec_lo, s0
	v_dual_add_nc_u32 v13, 1, v11 :: v_dual_add_nc_u32 v15, 1, v12
	s_wait_dscnt 0x0
	s_delay_alu instid0(VALU_DEP_2) | instskip(NEXT) | instid1(VALU_DEP_2)
	v_cmp_lt_u16_e64 s1, v10, v9
	v_cndmask_b32_e32 v14, v13, v11, vcc_lo
	s_delay_alu instid0(VALU_DEP_3) | instskip(NEXT) | instid1(VALU_DEP_2)
	v_cndmask_b32_e32 v13, v12, v15, vcc_lo
                                        ; implicit-def: $vgpr11
	v_cmp_ge_i32_e64 s0, v14, v7
	s_delay_alu instid0(VALU_DEP_2) | instskip(SKIP_1) | instid1(SALU_CYCLE_1)
	v_cmp_lt_i32_e64 s2, v13, v6
	s_or_b32 s0, s0, s1
	s_and_b32 s0, s2, s0
	s_delay_alu instid0(SALU_CYCLE_1) | instskip(NEXT) | instid1(SALU_CYCLE_1)
	s_xor_b32 s1, s0, -1
	s_and_saveexec_b32 s2, s1
	s_delay_alu instid0(SALU_CYCLE_1)
	s_xor_b32 s1, exec_lo, s2
; %bb.9:
	v_lshlrev_b32_e32 v11, 1, v14
	ds_load_u16 v11, v11 offset:2
; %bb.10:
	s_or_saveexec_b32 s1, s1
	v_mov_b32_e32 v12, v10
	s_xor_b32 exec_lo, exec_lo, s1
	s_cbranch_execz .LBB2_12
; %bb.11:
	s_wait_dscnt 0x0
	v_lshlrev_b32_e32 v11, 1, v13
	ds_load_u16 v12, v11 offset:2
	v_mov_b32_e32 v11, v9
.LBB2_12:
	s_or_b32 exec_lo, exec_lo, s1
	v_dual_add_nc_u32 v15, 1, v14 :: v_dual_add_nc_u32 v17, 1, v13
	s_wait_dscnt 0x0
	s_delay_alu instid0(VALU_DEP_2) | instskip(NEXT) | instid1(VALU_DEP_2)
	v_cmp_lt_u16_e64 s2, v12, v11
	v_dual_cndmask_b32 v16, v15, v14, s0 :: v_dual_cndmask_b32 v15, v13, v17, s0
                                        ; implicit-def: $vgpr13
	s_delay_alu instid0(VALU_DEP_1) | instskip(NEXT) | instid1(VALU_DEP_2)
	v_cmp_ge_i32_e64 s1, v16, v7
	v_cmp_lt_i32_e64 s3, v15, v6
	s_or_b32 s1, s1, s2
	s_delay_alu instid0(SALU_CYCLE_1) | instskip(NEXT) | instid1(SALU_CYCLE_1)
	s_and_b32 s1, s3, s1
	s_xor_b32 s2, s1, -1
	s_delay_alu instid0(SALU_CYCLE_1) | instskip(NEXT) | instid1(SALU_CYCLE_1)
	s_and_saveexec_b32 s3, s2
	s_xor_b32 s2, exec_lo, s3
; %bb.13:
	v_lshlrev_b32_e32 v13, 1, v16
	ds_load_u16 v13, v13 offset:2
; %bb.14:
	s_or_saveexec_b32 s2, s2
	v_mov_b32_e32 v14, v12
	s_xor_b32 exec_lo, exec_lo, s2
	s_cbranch_execz .LBB2_16
; %bb.15:
	s_wait_dscnt 0x0
	v_lshlrev_b32_e32 v13, 1, v15
	ds_load_u16 v14, v13 offset:2
	v_mov_b32_e32 v13, v11
.LBB2_16:
	s_or_b32 exec_lo, exec_lo, s2
	v_dual_add_nc_u32 v17, 1, v16 :: v_dual_add_nc_u32 v19, 1, v15
	s_wait_dscnt 0x0
	s_delay_alu instid0(VALU_DEP_2) | instskip(NEXT) | instid1(VALU_DEP_2)
	v_cmp_lt_u16_e64 s3, v14, v13
	v_dual_cndmask_b32 v18, v17, v16, s1 :: v_dual_cndmask_b32 v17, v15, v19, s1
                                        ; implicit-def: $vgpr15
	s_delay_alu instid0(VALU_DEP_1) | instskip(NEXT) | instid1(VALU_DEP_2)
	v_cmp_ge_i32_e64 s2, v18, v7
	v_cmp_lt_i32_e64 s4, v17, v6
	s_or_b32 s2, s2, s3
	s_delay_alu instid0(SALU_CYCLE_1) | instskip(NEXT) | instid1(SALU_CYCLE_1)
	s_and_b32 s2, s4, s2
	s_xor_b32 s3, s2, -1
	s_delay_alu instid0(SALU_CYCLE_1) | instskip(NEXT) | instid1(SALU_CYCLE_1)
	s_and_saveexec_b32 s4, s3
	s_xor_b32 s3, exec_lo, s4
; %bb.17:
	v_lshlrev_b32_e32 v15, 1, v18
	ds_load_u16 v15, v15 offset:2
; %bb.18:
	s_or_saveexec_b32 s3, s3
	v_mov_b32_e32 v16, v14
	s_xor_b32 exec_lo, exec_lo, s3
	s_cbranch_execz .LBB2_20
; %bb.19:
	s_wait_dscnt 0x0
	v_lshlrev_b32_e32 v15, 1, v17
	ds_load_u16 v16, v15 offset:2
	v_mov_b32_e32 v15, v13
.LBB2_20:
	s_or_b32 exec_lo, exec_lo, s3
	v_dual_add_nc_u32 v19, 1, v18 :: v_dual_add_nc_u32 v20, 1, v17
	s_wait_dscnt 0x0
	s_delay_alu instid0(VALU_DEP_2) | instskip(NEXT) | instid1(VALU_DEP_2)
	v_cmp_lt_u16_e64 s4, v16, v15
	v_dual_cndmask_b32 v18, v19, v18, s2 :: v_dual_cndmask_b32 v17, v17, v20, s2
                                        ; implicit-def: $vgpr20
	s_delay_alu instid0(VALU_DEP_1) | instskip(NEXT) | instid1(VALU_DEP_2)
	v_cmp_ge_i32_e64 s3, v18, v7
	v_cmp_lt_i32_e64 s5, v17, v6
	s_or_b32 s3, s3, s4
	s_delay_alu instid0(SALU_CYCLE_1) | instskip(NEXT) | instid1(SALU_CYCLE_1)
	s_and_b32 s3, s5, s3
	s_xor_b32 s4, s3, -1
	s_delay_alu instid0(SALU_CYCLE_1) | instskip(NEXT) | instid1(SALU_CYCLE_1)
	s_and_saveexec_b32 s5, s4
	s_xor_b32 s4, exec_lo, s5
; %bb.21:
	v_lshlrev_b32_e32 v19, 1, v18
	ds_load_u16 v20, v19 offset:2
; %bb.22:
	s_or_saveexec_b32 s4, s4
	v_mov_b32_e32 v22, v16
	s_xor_b32 exec_lo, exec_lo, s4
	s_cbranch_execz .LBB2_24
; %bb.23:
	s_wait_dscnt 0x0
	v_dual_mov_b32 v20, v15 :: v_dual_lshlrev_b32 v19, 1, v17
	ds_load_u16 v22, v19 offset:2
.LBB2_24:
	s_or_b32 exec_lo, exec_lo, s4
	v_dual_add_nc_u32 v19, 1, v18 :: v_dual_add_nc_u32 v21, 1, v17
	s_wait_dscnt 0x0
	v_cmp_lt_u16_e64 s5, v22, v20
	s_delay_alu instid0(VALU_DEP_2) | instskip(NEXT) | instid1(VALU_DEP_1)
	v_dual_cndmask_b32 v18, v19, v18, s3 :: v_dual_cndmask_b32 v19, v17, v21, s3
                                        ; implicit-def: $vgpr17
	v_cmp_ge_i32_e64 s4, v18, v7
	s_delay_alu instid0(VALU_DEP_2) | instskip(SKIP_1) | instid1(SALU_CYCLE_1)
	v_cmp_lt_i32_e64 s6, v19, v6
	s_or_b32 s4, s4, s5
	s_and_b32 s4, s6, s4
	s_delay_alu instid0(SALU_CYCLE_1) | instskip(NEXT) | instid1(SALU_CYCLE_1)
	s_xor_b32 s5, s4, -1
	s_and_saveexec_b32 s6, s5
	s_delay_alu instid0(SALU_CYCLE_1)
	s_xor_b32 s5, exec_lo, s6
; %bb.25:
	v_lshlrev_b32_e32 v17, 1, v18
	ds_load_u16 v17, v17 offset:2
; %bb.26:
	s_or_saveexec_b32 s5, s5
	v_mov_b32_e32 v21, v22
	s_xor_b32 exec_lo, exec_lo, s5
	s_cbranch_execz .LBB2_28
; %bb.27:
	s_wait_dscnt 0x0
	v_lshlrev_b32_e32 v17, 1, v19
	ds_load_u16 v21, v17 offset:2
	v_mov_b32_e32 v17, v20
.LBB2_28:
	s_or_b32 exec_lo, exec_lo, s5
	v_dual_add_nc_u32 v23, 1, v19 :: v_dual_add_nc_u32 v24, 1, v18
	v_cndmask_b32_e64 v20, v20, v22, s4
	v_and_b32_e32 v22, 0xfc, v0
	v_dual_cndmask_b32 v13, v13, v14, s2 :: v_dual_cndmask_b32 v11, v11, v12, s1
	s_delay_alu instid0(VALU_DEP_4) | instskip(SKIP_1) | instid1(VALU_DEP_4)
	v_dual_cndmask_b32 v18, v24, v18, s4 :: v_dual_cndmask_b32 v15, v15, v16, s3
	v_cndmask_b32_e64 v19, v19, v23, s4
	v_mul_u32_u24_e32 v12, 7, v22
	v_dual_cndmask_b32 v14, v9, v10, s0 :: v_dual_cndmask_b32 v8, v3, v8, vcc_lo
	s_delay_alu instid0(VALU_DEP_4)
	v_cmp_ge_i32_e64 s0, v18, v7
	s_wait_dscnt 0x0
	v_cmp_lt_u16_e64 s1, v21, v17
	v_min_u32_e32 v7, 0x6f2, v12
	v_min_u32_e32 v3, 0x6e4, v12
	v_cmp_lt_i32_e32 vcc_lo, v19, v6
	v_and_b32_e32 v9, 3, v0
	s_or_b32 s0, s0, s1
	v_add_nc_u32_e32 v6, 14, v7
	v_min_u32_e32 v10, 0x700, v12
	s_and_b32 vcc_lo, vcc_lo, s0
	s_delay_alu instid0(SALU_CYCLE_1) | instskip(SKIP_3) | instid1(VALU_DEP_4)
	v_dual_add_nc_u32 v3, 28, v3 :: v_dual_cndmask_b32 v17, v17, v21, vcc_lo
	v_mul_u32_u24_e32 v9, 7, v9
	v_perm_b32 v16, v20, v15, 0x5040100
	v_perm_b32 v15, v13, v11, 0x5040100
	v_sub_nc_u32_e32 v18, v3, v6
	v_sub_nc_u32_e32 v12, v6, v10
	v_perm_b32 v14, v14, v8, 0x5040100
	v_lshlrev_b32_e32 v8, 1, v10
	s_mov_b32 s1, 0
	s_delay_alu instid0(VALU_DEP_3)
	v_dual_sub_nc_u32 v11, v9, v18 :: v_dual_min_i32 v12, v9, v12
	v_cmp_ge_i32_e32 vcc_lo, v9, v18
	s_mov_b32 s0, exec_lo
	s_barrier_signal -1
	s_barrier_wait -1
	v_cndmask_b32_e32 v11, 0, v11, vcc_lo
	ds_store_b96 v2, v[14:16]
	ds_store_b16 v2, v17 offset:12
	s_wait_dscnt 0x0
	s_barrier_signal -1
	s_barrier_wait -1
	v_cmpx_lt_i32_e64 v11, v12
	s_cbranch_execz .LBB2_32
; %bb.29:
	v_lshlrev_b32_e32 v13, 1, v9
	s_delay_alu instid0(VALU_DEP_1)
	v_lshl_add_u32 v13, v7, 1, v13
.LBB2_30:                               ; =>This Inner Loop Header: Depth=1
	v_sub_nc_u32_e32 v14, v12, v11
	s_delay_alu instid0(VALU_DEP_1) | instskip(NEXT) | instid1(VALU_DEP_1)
	v_lshrrev_b32_e32 v14, 1, v14
	v_add_nc_u32_e32 v14, v14, v11
	s_delay_alu instid0(VALU_DEP_1) | instskip(SKIP_1) | instid1(VALU_DEP_2)
	v_not_b32_e32 v15, v14
	v_lshl_add_u32 v16, v14, 1, v8
	v_lshl_add_u32 v15, v15, 1, v13
	ds_load_u16 v16, v16
	ds_load_u16 v15, v15 offset:28
	s_wait_dscnt 0x0
	v_cmp_lt_u16_e32 vcc_lo, v15, v16
	v_dual_cndmask_b32 v12, v12, v14 :: v_dual_add_nc_u32 v17, 1, v14
	s_delay_alu instid0(VALU_DEP_1) | instskip(NEXT) | instid1(VALU_DEP_1)
	v_cndmask_b32_e32 v11, v17, v11, vcc_lo
	v_cmp_ge_i32_e32 vcc_lo, v11, v12
	s_or_b32 s1, vcc_lo, s1
	s_delay_alu instid0(SALU_CYCLE_1)
	s_and_not1_b32 exec_lo, exec_lo, s1
	s_cbranch_execnz .LBB2_30
; %bb.31:
	s_or_b32 exec_lo, exec_lo, s1
.LBB2_32:
	s_delay_alu instid0(SALU_CYCLE_1) | instskip(SKIP_3) | instid1(VALU_DEP_3)
	s_or_b32 exec_lo, exec_lo, s0
	v_dual_add_nc_u32 v7, v7, v9 :: v_dual_add_nc_u32 v9, v6, v9
	v_lshl_add_u32 v14, v11, 1, v8
	v_add_nc_u32_e32 v12, v11, v10
	v_dual_sub_nc_u32 v7, v7, v11 :: v_dual_sub_nc_u32 v11, v9, v11
                                        ; implicit-def: $vgpr9
	s_delay_alu instid0(VALU_DEP_2) | instskip(NEXT) | instid1(VALU_DEP_2)
	v_cmp_le_i32_e32 vcc_lo, v6, v12
	v_lshlrev_b32_e32 v13, 1, v7
	s_delay_alu instid0(VALU_DEP_3)
	v_cmp_gt_i32_e64 s1, v3, v11
	ds_load_u16 v7, v14
	ds_load_u16 v8, v13 offset:28
	s_wait_dscnt 0x0
	v_cmp_lt_u16_e64 s0, v8, v7
	s_or_b32 s0, vcc_lo, s0
	s_delay_alu instid0(SALU_CYCLE_1) | instskip(NEXT) | instid1(SALU_CYCLE_1)
	s_and_b32 vcc_lo, s1, s0
	s_xor_b32 s0, vcc_lo, -1
	s_delay_alu instid0(SALU_CYCLE_1) | instskip(NEXT) | instid1(SALU_CYCLE_1)
	s_and_saveexec_b32 s1, s0
	s_xor_b32 s0, exec_lo, s1
; %bb.33:
	ds_load_u16 v9, v14 offset:2
                                        ; implicit-def: $vgpr13
; %bb.34:
	s_or_saveexec_b32 s0, s0
	v_mov_b32_e32 v10, v8
	s_xor_b32 exec_lo, exec_lo, s0
	s_cbranch_execz .LBB2_36
; %bb.35:
	ds_load_u16 v10, v13 offset:30
	s_wait_dscnt 0x1
	v_mov_b32_e32 v9, v7
.LBB2_36:
	s_or_b32 exec_lo, exec_lo, s0
	v_dual_add_nc_u32 v13, 1, v12 :: v_dual_add_nc_u32 v15, 1, v11
	s_wait_dscnt 0x0
	s_delay_alu instid0(VALU_DEP_2) | instskip(NEXT) | instid1(VALU_DEP_2)
	v_cmp_lt_u16_e64 s1, v10, v9
	v_dual_cndmask_b32 v14, v13, v12 :: v_dual_cndmask_b32 v13, v11, v15
                                        ; implicit-def: $vgpr11
	s_delay_alu instid0(VALU_DEP_1) | instskip(NEXT) | instid1(VALU_DEP_2)
	v_cmp_ge_i32_e64 s0, v14, v6
	v_cmp_lt_i32_e64 s2, v13, v3
	s_or_b32 s0, s0, s1
	s_delay_alu instid0(SALU_CYCLE_1) | instskip(NEXT) | instid1(SALU_CYCLE_1)
	s_and_b32 s0, s2, s0
	s_xor_b32 s1, s0, -1
	s_delay_alu instid0(SALU_CYCLE_1) | instskip(NEXT) | instid1(SALU_CYCLE_1)
	s_and_saveexec_b32 s2, s1
	s_xor_b32 s1, exec_lo, s2
; %bb.37:
	v_lshlrev_b32_e32 v11, 1, v14
	ds_load_u16 v11, v11 offset:2
; %bb.38:
	s_or_saveexec_b32 s1, s1
	v_mov_b32_e32 v12, v10
	s_xor_b32 exec_lo, exec_lo, s1
	s_cbranch_execz .LBB2_40
; %bb.39:
	s_wait_dscnt 0x0
	v_lshlrev_b32_e32 v11, 1, v13
	ds_load_u16 v12, v11 offset:2
	v_mov_b32_e32 v11, v9
.LBB2_40:
	s_or_b32 exec_lo, exec_lo, s1
	v_dual_add_nc_u32 v15, 1, v14 :: v_dual_add_nc_u32 v17, 1, v13
	s_wait_dscnt 0x0
	s_delay_alu instid0(VALU_DEP_2) | instskip(NEXT) | instid1(VALU_DEP_2)
	v_cmp_lt_u16_e64 s2, v12, v11
	v_dual_cndmask_b32 v16, v15, v14, s0 :: v_dual_cndmask_b32 v15, v13, v17, s0
                                        ; implicit-def: $vgpr13
	s_delay_alu instid0(VALU_DEP_1) | instskip(NEXT) | instid1(VALU_DEP_2)
	v_cmp_ge_i32_e64 s1, v16, v6
	v_cmp_lt_i32_e64 s3, v15, v3
	s_or_b32 s1, s1, s2
	s_delay_alu instid0(SALU_CYCLE_1) | instskip(NEXT) | instid1(SALU_CYCLE_1)
	s_and_b32 s1, s3, s1
	s_xor_b32 s2, s1, -1
	s_delay_alu instid0(SALU_CYCLE_1) | instskip(NEXT) | instid1(SALU_CYCLE_1)
	s_and_saveexec_b32 s3, s2
	s_xor_b32 s2, exec_lo, s3
; %bb.41:
	v_lshlrev_b32_e32 v13, 1, v16
	ds_load_u16 v13, v13 offset:2
; %bb.42:
	s_or_saveexec_b32 s2, s2
	v_mov_b32_e32 v14, v12
	s_xor_b32 exec_lo, exec_lo, s2
	s_cbranch_execz .LBB2_44
; %bb.43:
	s_wait_dscnt 0x0
	v_lshlrev_b32_e32 v13, 1, v15
	ds_load_u16 v14, v13 offset:2
	v_mov_b32_e32 v13, v11
.LBB2_44:
	s_or_b32 exec_lo, exec_lo, s2
	v_dual_add_nc_u32 v17, 1, v16 :: v_dual_add_nc_u32 v19, 1, v15
	s_wait_dscnt 0x0
	s_delay_alu instid0(VALU_DEP_2) | instskip(NEXT) | instid1(VALU_DEP_2)
	v_cmp_lt_u16_e64 s3, v14, v13
	v_dual_cndmask_b32 v18, v17, v16, s1 :: v_dual_cndmask_b32 v17, v15, v19, s1
                                        ; implicit-def: $vgpr15
	s_delay_alu instid0(VALU_DEP_1) | instskip(NEXT) | instid1(VALU_DEP_2)
	v_cmp_ge_i32_e64 s2, v18, v6
	v_cmp_lt_i32_e64 s4, v17, v3
	s_or_b32 s2, s2, s3
	s_delay_alu instid0(SALU_CYCLE_1) | instskip(NEXT) | instid1(SALU_CYCLE_1)
	s_and_b32 s2, s4, s2
	s_xor_b32 s3, s2, -1
	s_delay_alu instid0(SALU_CYCLE_1) | instskip(NEXT) | instid1(SALU_CYCLE_1)
	s_and_saveexec_b32 s4, s3
	s_xor_b32 s3, exec_lo, s4
; %bb.45:
	v_lshlrev_b32_e32 v15, 1, v18
	ds_load_u16 v15, v15 offset:2
; %bb.46:
	s_or_saveexec_b32 s3, s3
	v_mov_b32_e32 v16, v14
	s_xor_b32 exec_lo, exec_lo, s3
	s_cbranch_execz .LBB2_48
; %bb.47:
	s_wait_dscnt 0x0
	v_lshlrev_b32_e32 v15, 1, v17
	ds_load_u16 v16, v15 offset:2
	v_mov_b32_e32 v15, v13
.LBB2_48:
	s_or_b32 exec_lo, exec_lo, s3
	v_dual_add_nc_u32 v19, 1, v18 :: v_dual_add_nc_u32 v20, 1, v17
	s_wait_dscnt 0x0
	s_delay_alu instid0(VALU_DEP_2) | instskip(NEXT) | instid1(VALU_DEP_2)
	v_cmp_lt_u16_e64 s4, v16, v15
	v_dual_cndmask_b32 v18, v19, v18, s2 :: v_dual_cndmask_b32 v17, v17, v20, s2
                                        ; implicit-def: $vgpr20
	s_delay_alu instid0(VALU_DEP_1) | instskip(NEXT) | instid1(VALU_DEP_2)
	v_cmp_ge_i32_e64 s3, v18, v6
	v_cmp_lt_i32_e64 s5, v17, v3
	s_or_b32 s3, s3, s4
	s_delay_alu instid0(SALU_CYCLE_1) | instskip(NEXT) | instid1(SALU_CYCLE_1)
	s_and_b32 s3, s5, s3
	s_xor_b32 s4, s3, -1
	s_delay_alu instid0(SALU_CYCLE_1) | instskip(NEXT) | instid1(SALU_CYCLE_1)
	s_and_saveexec_b32 s5, s4
	s_xor_b32 s4, exec_lo, s5
; %bb.49:
	v_lshlrev_b32_e32 v19, 1, v18
	ds_load_u16 v20, v19 offset:2
; %bb.50:
	s_or_saveexec_b32 s4, s4
	v_mov_b32_e32 v22, v16
	s_xor_b32 exec_lo, exec_lo, s4
	s_cbranch_execz .LBB2_52
; %bb.51:
	s_wait_dscnt 0x0
	v_dual_mov_b32 v20, v15 :: v_dual_lshlrev_b32 v19, 1, v17
	ds_load_u16 v22, v19 offset:2
.LBB2_52:
	s_or_b32 exec_lo, exec_lo, s4
	v_dual_add_nc_u32 v19, 1, v18 :: v_dual_add_nc_u32 v21, 1, v17
	s_wait_dscnt 0x0
	v_cmp_lt_u16_e64 s5, v22, v20
	s_delay_alu instid0(VALU_DEP_2) | instskip(NEXT) | instid1(VALU_DEP_1)
	v_dual_cndmask_b32 v18, v19, v18, s3 :: v_dual_cndmask_b32 v19, v17, v21, s3
                                        ; implicit-def: $vgpr17
	v_cmp_ge_i32_e64 s4, v18, v6
	s_delay_alu instid0(VALU_DEP_2) | instskip(SKIP_1) | instid1(SALU_CYCLE_1)
	v_cmp_lt_i32_e64 s6, v19, v3
	s_or_b32 s4, s4, s5
	s_and_b32 s4, s6, s4
	s_delay_alu instid0(SALU_CYCLE_1) | instskip(NEXT) | instid1(SALU_CYCLE_1)
	s_xor_b32 s5, s4, -1
	s_and_saveexec_b32 s6, s5
	s_delay_alu instid0(SALU_CYCLE_1)
	s_xor_b32 s5, exec_lo, s6
; %bb.53:
	v_lshlrev_b32_e32 v17, 1, v18
	ds_load_u16 v17, v17 offset:2
; %bb.54:
	s_or_saveexec_b32 s5, s5
	v_mov_b32_e32 v21, v22
	s_xor_b32 exec_lo, exec_lo, s5
	s_cbranch_execz .LBB2_56
; %bb.55:
	s_wait_dscnt 0x0
	v_lshlrev_b32_e32 v17, 1, v19
	ds_load_u16 v21, v17 offset:2
	v_mov_b32_e32 v17, v20
.LBB2_56:
	s_or_b32 exec_lo, exec_lo, s5
	v_dual_add_nc_u32 v23, 1, v19 :: v_dual_add_nc_u32 v24, 1, v18
	v_cndmask_b32_e64 v20, v20, v22, s4
	v_and_b32_e32 v22, 0xf8, v0
	v_dual_cndmask_b32 v13, v13, v14, s2 :: v_dual_cndmask_b32 v11, v11, v12, s1
	s_delay_alu instid0(VALU_DEP_4) | instskip(NEXT) | instid1(VALU_DEP_3)
	v_dual_cndmask_b32 v18, v24, v18, s4 :: v_dual_cndmask_b32 v15, v15, v16, s3
	v_mul_u32_u24_e32 v12, 7, v22
	v_dual_cndmask_b32 v19, v19, v23, s4 :: v_dual_cndmask_b32 v14, v9, v10, s0
	v_cndmask_b32_e32 v8, v7, v8, vcc_lo
	s_delay_alu instid0(VALU_DEP_4) | instskip(NEXT) | instid1(VALU_DEP_4)
	v_cmp_ge_i32_e64 s0, v18, v6
	v_min_u32_e32 v7, 0x6e4, v12
	v_min_u32_e32 v9, 0x6c8, v12
	s_wait_dscnt 0x0
	v_cmp_lt_u16_e64 s1, v21, v17
	v_cmp_lt_i32_e32 vcc_lo, v19, v3
	v_dual_add_nc_u32 v6, 28, v7 :: v_dual_bitop2_b32 v10, 7, v0 bitop3:0x40
	v_add_nc_u32_e32 v3, 56, v9
	s_or_b32 s0, s0, s1
	v_perm_b32 v16, v20, v15, 0x5040100
	s_and_b32 vcc_lo, vcc_lo, s0
	v_mul_u32_u24_e32 v9, 7, v10
	v_dual_cndmask_b32 v17, v17, v21 :: v_dual_sub_nc_u32 v18, v3, v6
	v_min_u32_e32 v10, 0x700, v12
	v_perm_b32 v15, v13, v11, 0x5040100
	v_perm_b32 v14, v14, v8, 0x5040100
	s_mov_b32 s1, 0
	v_sub_nc_u32_e32 v11, v9, v18
	v_cmp_ge_i32_e32 vcc_lo, v9, v18
	v_dual_sub_nc_u32 v12, v6, v10 :: v_dual_lshlrev_b32 v8, 1, v10
	s_mov_b32 s0, exec_lo
	s_delay_alu instid0(VALU_DEP_1)
	v_dual_cndmask_b32 v11, 0, v11 :: v_dual_min_i32 v12, v9, v12
	s_barrier_signal -1
	s_barrier_wait -1
	ds_store_b96 v2, v[14:16]
	ds_store_b16 v2, v17 offset:12
	s_wait_dscnt 0x0
	s_barrier_signal -1
	s_barrier_wait -1
	v_cmpx_lt_i32_e64 v11, v12
	s_cbranch_execz .LBB2_60
; %bb.57:
	v_lshlrev_b32_e32 v13, 1, v9
	s_delay_alu instid0(VALU_DEP_1)
	v_lshl_add_u32 v13, v7, 1, v13
.LBB2_58:                               ; =>This Inner Loop Header: Depth=1
	v_sub_nc_u32_e32 v14, v12, v11
	s_delay_alu instid0(VALU_DEP_1) | instskip(NEXT) | instid1(VALU_DEP_1)
	v_lshrrev_b32_e32 v14, 1, v14
	v_add_nc_u32_e32 v14, v14, v11
	s_delay_alu instid0(VALU_DEP_1) | instskip(SKIP_1) | instid1(VALU_DEP_2)
	v_not_b32_e32 v15, v14
	v_lshl_add_u32 v16, v14, 1, v8
	v_lshl_add_u32 v15, v15, 1, v13
	ds_load_u16 v16, v16
	ds_load_u16 v15, v15 offset:56
	s_wait_dscnt 0x0
	v_cmp_lt_u16_e32 vcc_lo, v15, v16
	v_dual_cndmask_b32 v12, v12, v14 :: v_dual_add_nc_u32 v17, 1, v14
	s_delay_alu instid0(VALU_DEP_1) | instskip(NEXT) | instid1(VALU_DEP_1)
	v_cndmask_b32_e32 v11, v17, v11, vcc_lo
	v_cmp_ge_i32_e32 vcc_lo, v11, v12
	s_or_b32 s1, vcc_lo, s1
	s_delay_alu instid0(SALU_CYCLE_1)
	s_and_not1_b32 exec_lo, exec_lo, s1
	s_cbranch_execnz .LBB2_58
; %bb.59:
	s_or_b32 exec_lo, exec_lo, s1
.LBB2_60:
	s_delay_alu instid0(SALU_CYCLE_1) | instskip(SKIP_3) | instid1(VALU_DEP_3)
	s_or_b32 exec_lo, exec_lo, s0
	v_dual_add_nc_u32 v7, v7, v9 :: v_dual_add_nc_u32 v9, v6, v9
	v_lshl_add_u32 v14, v11, 1, v8
	v_add_nc_u32_e32 v12, v11, v10
	v_dual_sub_nc_u32 v7, v7, v11 :: v_dual_sub_nc_u32 v11, v9, v11
                                        ; implicit-def: $vgpr9
	s_delay_alu instid0(VALU_DEP_2) | instskip(NEXT) | instid1(VALU_DEP_2)
	v_cmp_le_i32_e32 vcc_lo, v6, v12
	v_lshlrev_b32_e32 v13, 1, v7
	s_delay_alu instid0(VALU_DEP_3)
	v_cmp_gt_i32_e64 s1, v3, v11
	ds_load_u16 v7, v14
	ds_load_u16 v8, v13 offset:56
	s_wait_dscnt 0x0
	v_cmp_lt_u16_e64 s0, v8, v7
	s_or_b32 s0, vcc_lo, s0
	s_delay_alu instid0(SALU_CYCLE_1) | instskip(NEXT) | instid1(SALU_CYCLE_1)
	s_and_b32 vcc_lo, s1, s0
	s_xor_b32 s0, vcc_lo, -1
	s_delay_alu instid0(SALU_CYCLE_1) | instskip(NEXT) | instid1(SALU_CYCLE_1)
	s_and_saveexec_b32 s1, s0
	s_xor_b32 s0, exec_lo, s1
; %bb.61:
	ds_load_u16 v9, v14 offset:2
                                        ; implicit-def: $vgpr13
; %bb.62:
	s_or_saveexec_b32 s0, s0
	v_mov_b32_e32 v10, v8
	s_xor_b32 exec_lo, exec_lo, s0
	s_cbranch_execz .LBB2_64
; %bb.63:
	ds_load_u16 v10, v13 offset:58
	s_wait_dscnt 0x1
	v_mov_b32_e32 v9, v7
.LBB2_64:
	s_or_b32 exec_lo, exec_lo, s0
	v_dual_add_nc_u32 v13, 1, v12 :: v_dual_add_nc_u32 v15, 1, v11
	s_wait_dscnt 0x0
	s_delay_alu instid0(VALU_DEP_2) | instskip(NEXT) | instid1(VALU_DEP_2)
	v_cmp_lt_u16_e64 s1, v10, v9
	v_dual_cndmask_b32 v14, v13, v12 :: v_dual_cndmask_b32 v13, v11, v15
                                        ; implicit-def: $vgpr11
	s_delay_alu instid0(VALU_DEP_1) | instskip(NEXT) | instid1(VALU_DEP_2)
	v_cmp_ge_i32_e64 s0, v14, v6
	v_cmp_lt_i32_e64 s2, v13, v3
	s_or_b32 s0, s0, s1
	s_delay_alu instid0(SALU_CYCLE_1) | instskip(NEXT) | instid1(SALU_CYCLE_1)
	s_and_b32 s0, s2, s0
	s_xor_b32 s1, s0, -1
	s_delay_alu instid0(SALU_CYCLE_1) | instskip(NEXT) | instid1(SALU_CYCLE_1)
	s_and_saveexec_b32 s2, s1
	s_xor_b32 s1, exec_lo, s2
; %bb.65:
	v_lshlrev_b32_e32 v11, 1, v14
	ds_load_u16 v11, v11 offset:2
; %bb.66:
	s_or_saveexec_b32 s1, s1
	v_mov_b32_e32 v12, v10
	s_xor_b32 exec_lo, exec_lo, s1
	s_cbranch_execz .LBB2_68
; %bb.67:
	s_wait_dscnt 0x0
	v_lshlrev_b32_e32 v11, 1, v13
	ds_load_u16 v12, v11 offset:2
	v_mov_b32_e32 v11, v9
.LBB2_68:
	s_or_b32 exec_lo, exec_lo, s1
	v_dual_add_nc_u32 v15, 1, v14 :: v_dual_add_nc_u32 v17, 1, v13
	s_wait_dscnt 0x0
	s_delay_alu instid0(VALU_DEP_2) | instskip(NEXT) | instid1(VALU_DEP_2)
	v_cmp_lt_u16_e64 s2, v12, v11
	v_dual_cndmask_b32 v16, v15, v14, s0 :: v_dual_cndmask_b32 v15, v13, v17, s0
                                        ; implicit-def: $vgpr13
	s_delay_alu instid0(VALU_DEP_1) | instskip(NEXT) | instid1(VALU_DEP_2)
	v_cmp_ge_i32_e64 s1, v16, v6
	v_cmp_lt_i32_e64 s3, v15, v3
	s_or_b32 s1, s1, s2
	s_delay_alu instid0(SALU_CYCLE_1) | instskip(NEXT) | instid1(SALU_CYCLE_1)
	s_and_b32 s1, s3, s1
	s_xor_b32 s2, s1, -1
	s_delay_alu instid0(SALU_CYCLE_1) | instskip(NEXT) | instid1(SALU_CYCLE_1)
	s_and_saveexec_b32 s3, s2
	s_xor_b32 s2, exec_lo, s3
; %bb.69:
	v_lshlrev_b32_e32 v13, 1, v16
	ds_load_u16 v13, v13 offset:2
; %bb.70:
	s_or_saveexec_b32 s2, s2
	v_mov_b32_e32 v14, v12
	s_xor_b32 exec_lo, exec_lo, s2
	s_cbranch_execz .LBB2_72
; %bb.71:
	s_wait_dscnt 0x0
	v_lshlrev_b32_e32 v13, 1, v15
	ds_load_u16 v14, v13 offset:2
	v_mov_b32_e32 v13, v11
.LBB2_72:
	s_or_b32 exec_lo, exec_lo, s2
	v_dual_add_nc_u32 v17, 1, v16 :: v_dual_add_nc_u32 v19, 1, v15
	s_wait_dscnt 0x0
	s_delay_alu instid0(VALU_DEP_2) | instskip(NEXT) | instid1(VALU_DEP_2)
	v_cmp_lt_u16_e64 s3, v14, v13
	v_dual_cndmask_b32 v18, v17, v16, s1 :: v_dual_cndmask_b32 v17, v15, v19, s1
                                        ; implicit-def: $vgpr15
	s_delay_alu instid0(VALU_DEP_1) | instskip(NEXT) | instid1(VALU_DEP_2)
	v_cmp_ge_i32_e64 s2, v18, v6
	v_cmp_lt_i32_e64 s4, v17, v3
	s_or_b32 s2, s2, s3
	s_delay_alu instid0(SALU_CYCLE_1) | instskip(NEXT) | instid1(SALU_CYCLE_1)
	s_and_b32 s2, s4, s2
	s_xor_b32 s3, s2, -1
	s_delay_alu instid0(SALU_CYCLE_1) | instskip(NEXT) | instid1(SALU_CYCLE_1)
	s_and_saveexec_b32 s4, s3
	s_xor_b32 s3, exec_lo, s4
; %bb.73:
	v_lshlrev_b32_e32 v15, 1, v18
	ds_load_u16 v15, v15 offset:2
; %bb.74:
	s_or_saveexec_b32 s3, s3
	v_mov_b32_e32 v16, v14
	s_xor_b32 exec_lo, exec_lo, s3
	s_cbranch_execz .LBB2_76
; %bb.75:
	s_wait_dscnt 0x0
	v_lshlrev_b32_e32 v15, 1, v17
	ds_load_u16 v16, v15 offset:2
	v_mov_b32_e32 v15, v13
.LBB2_76:
	s_or_b32 exec_lo, exec_lo, s3
	v_dual_add_nc_u32 v19, 1, v18 :: v_dual_add_nc_u32 v20, 1, v17
	s_wait_dscnt 0x0
	s_delay_alu instid0(VALU_DEP_2) | instskip(NEXT) | instid1(VALU_DEP_2)
	v_cmp_lt_u16_e64 s4, v16, v15
	v_dual_cndmask_b32 v18, v19, v18, s2 :: v_dual_cndmask_b32 v17, v17, v20, s2
                                        ; implicit-def: $vgpr20
	s_delay_alu instid0(VALU_DEP_1) | instskip(NEXT) | instid1(VALU_DEP_2)
	v_cmp_ge_i32_e64 s3, v18, v6
	v_cmp_lt_i32_e64 s5, v17, v3
	s_or_b32 s3, s3, s4
	s_delay_alu instid0(SALU_CYCLE_1) | instskip(NEXT) | instid1(SALU_CYCLE_1)
	s_and_b32 s3, s5, s3
	s_xor_b32 s4, s3, -1
	s_delay_alu instid0(SALU_CYCLE_1) | instskip(NEXT) | instid1(SALU_CYCLE_1)
	s_and_saveexec_b32 s5, s4
	s_xor_b32 s4, exec_lo, s5
; %bb.77:
	v_lshlrev_b32_e32 v19, 1, v18
	ds_load_u16 v20, v19 offset:2
; %bb.78:
	s_or_saveexec_b32 s4, s4
	v_mov_b32_e32 v22, v16
	s_xor_b32 exec_lo, exec_lo, s4
	s_cbranch_execz .LBB2_80
; %bb.79:
	s_wait_dscnt 0x0
	v_dual_mov_b32 v20, v15 :: v_dual_lshlrev_b32 v19, 1, v17
	ds_load_u16 v22, v19 offset:2
.LBB2_80:
	s_or_b32 exec_lo, exec_lo, s4
	v_dual_add_nc_u32 v19, 1, v18 :: v_dual_add_nc_u32 v21, 1, v17
	s_wait_dscnt 0x0
	v_cmp_lt_u16_e64 s5, v22, v20
	s_delay_alu instid0(VALU_DEP_2) | instskip(NEXT) | instid1(VALU_DEP_1)
	v_dual_cndmask_b32 v18, v19, v18, s3 :: v_dual_cndmask_b32 v19, v17, v21, s3
                                        ; implicit-def: $vgpr17
	v_cmp_ge_i32_e64 s4, v18, v6
	s_delay_alu instid0(VALU_DEP_2) | instskip(SKIP_1) | instid1(SALU_CYCLE_1)
	v_cmp_lt_i32_e64 s6, v19, v3
	s_or_b32 s4, s4, s5
	s_and_b32 s4, s6, s4
	s_delay_alu instid0(SALU_CYCLE_1) | instskip(NEXT) | instid1(SALU_CYCLE_1)
	s_xor_b32 s5, s4, -1
	s_and_saveexec_b32 s6, s5
	s_delay_alu instid0(SALU_CYCLE_1)
	s_xor_b32 s5, exec_lo, s6
; %bb.81:
	v_lshlrev_b32_e32 v17, 1, v18
	ds_load_u16 v17, v17 offset:2
; %bb.82:
	s_or_saveexec_b32 s5, s5
	v_mov_b32_e32 v21, v22
	s_xor_b32 exec_lo, exec_lo, s5
	s_cbranch_execz .LBB2_84
; %bb.83:
	s_wait_dscnt 0x0
	v_lshlrev_b32_e32 v17, 1, v19
	ds_load_u16 v21, v17 offset:2
	v_mov_b32_e32 v17, v20
.LBB2_84:
	s_or_b32 exec_lo, exec_lo, s5
	v_dual_add_nc_u32 v23, 1, v19 :: v_dual_add_nc_u32 v24, 1, v18
	v_cndmask_b32_e64 v20, v20, v22, s4
	v_and_b32_e32 v22, 0xf0, v0
	v_dual_cndmask_b32 v13, v13, v14, s2 :: v_dual_cndmask_b32 v11, v11, v12, s1
	s_delay_alu instid0(VALU_DEP_4) | instskip(NEXT) | instid1(VALU_DEP_3)
	v_dual_cndmask_b32 v18, v24, v18, s4 :: v_dual_cndmask_b32 v15, v15, v16, s3
	v_mul_u32_u24_e32 v12, 7, v22
	v_dual_cndmask_b32 v19, v19, v23, s4 :: v_dual_cndmask_b32 v14, v9, v10, s0
	v_cndmask_b32_e32 v8, v7, v8, vcc_lo
	s_delay_alu instid0(VALU_DEP_4) | instskip(NEXT) | instid1(VALU_DEP_4)
	v_cmp_ge_i32_e64 s0, v18, v6
	v_min_u32_e32 v7, 0x6c8, v12
	v_min_u32_e32 v9, 0x690, v12
	s_wait_dscnt 0x0
	v_cmp_lt_u16_e64 s1, v21, v17
	v_cmp_lt_i32_e32 vcc_lo, v19, v3
	v_dual_add_nc_u32 v6, 56, v7 :: v_dual_bitop2_b32 v10, 15, v0 bitop3:0x40
	v_add_nc_u32_e32 v3, 0x70, v9
	s_or_b32 s0, s0, s1
	v_perm_b32 v16, v20, v15, 0x5040100
	s_and_b32 vcc_lo, vcc_lo, s0
	v_mul_u32_u24_e32 v9, 7, v10
	v_dual_cndmask_b32 v17, v17, v21 :: v_dual_sub_nc_u32 v18, v3, v6
	v_min_u32_e32 v10, 0x700, v12
	v_perm_b32 v15, v13, v11, 0x5040100
	v_perm_b32 v14, v14, v8, 0x5040100
	s_mov_b32 s1, 0
	v_cmp_ge_i32_e32 vcc_lo, v9, v18
	v_sub_nc_u32_e32 v12, v6, v10
	v_sub_nc_u32_e32 v11, v9, v18
	v_lshlrev_b32_e32 v8, 1, v10
	s_mov_b32 s0, exec_lo
	s_delay_alu instid0(VALU_DEP_2)
	v_dual_cndmask_b32 v11, 0, v11 :: v_dual_min_i32 v12, v9, v12
	s_barrier_signal -1
	s_barrier_wait -1
	ds_store_b96 v2, v[14:16]
	ds_store_b16 v2, v17 offset:12
	s_wait_dscnt 0x0
	s_barrier_signal -1
	s_barrier_wait -1
	v_cmpx_lt_i32_e64 v11, v12
	s_cbranch_execz .LBB2_88
; %bb.85:
	v_lshlrev_b32_e32 v13, 1, v9
	s_delay_alu instid0(VALU_DEP_1)
	v_lshl_add_u32 v13, v7, 1, v13
.LBB2_86:                               ; =>This Inner Loop Header: Depth=1
	v_sub_nc_u32_e32 v14, v12, v11
	s_delay_alu instid0(VALU_DEP_1) | instskip(NEXT) | instid1(VALU_DEP_1)
	v_lshrrev_b32_e32 v14, 1, v14
	v_add_nc_u32_e32 v14, v14, v11
	s_delay_alu instid0(VALU_DEP_1) | instskip(SKIP_1) | instid1(VALU_DEP_2)
	v_not_b32_e32 v15, v14
	v_lshl_add_u32 v16, v14, 1, v8
	v_lshl_add_u32 v15, v15, 1, v13
	ds_load_u16 v16, v16
	ds_load_u16 v15, v15 offset:112
	s_wait_dscnt 0x0
	v_cmp_lt_u16_e32 vcc_lo, v15, v16
	v_dual_cndmask_b32 v12, v12, v14 :: v_dual_add_nc_u32 v17, 1, v14
	s_delay_alu instid0(VALU_DEP_1) | instskip(NEXT) | instid1(VALU_DEP_1)
	v_cndmask_b32_e32 v11, v17, v11, vcc_lo
	v_cmp_ge_i32_e32 vcc_lo, v11, v12
	s_or_b32 s1, vcc_lo, s1
	s_delay_alu instid0(SALU_CYCLE_1)
	s_and_not1_b32 exec_lo, exec_lo, s1
	s_cbranch_execnz .LBB2_86
; %bb.87:
	s_or_b32 exec_lo, exec_lo, s1
.LBB2_88:
	s_delay_alu instid0(SALU_CYCLE_1) | instskip(SKIP_3) | instid1(VALU_DEP_3)
	s_or_b32 exec_lo, exec_lo, s0
	v_dual_add_nc_u32 v7, v7, v9 :: v_dual_add_nc_u32 v9, v6, v9
	v_lshl_add_u32 v14, v11, 1, v8
	v_add_nc_u32_e32 v12, v11, v10
	v_dual_sub_nc_u32 v7, v7, v11 :: v_dual_sub_nc_u32 v11, v9, v11
                                        ; implicit-def: $vgpr9
	s_delay_alu instid0(VALU_DEP_2) | instskip(NEXT) | instid1(VALU_DEP_2)
	v_cmp_le_i32_e32 vcc_lo, v6, v12
	v_lshlrev_b32_e32 v13, 1, v7
	s_delay_alu instid0(VALU_DEP_3)
	v_cmp_gt_i32_e64 s1, v3, v11
	ds_load_u16 v7, v14
	ds_load_u16 v8, v13 offset:112
	s_wait_dscnt 0x0
	v_cmp_lt_u16_e64 s0, v8, v7
	s_or_b32 s0, vcc_lo, s0
	s_delay_alu instid0(SALU_CYCLE_1) | instskip(NEXT) | instid1(SALU_CYCLE_1)
	s_and_b32 vcc_lo, s1, s0
	s_xor_b32 s0, vcc_lo, -1
	s_delay_alu instid0(SALU_CYCLE_1) | instskip(NEXT) | instid1(SALU_CYCLE_1)
	s_and_saveexec_b32 s1, s0
	s_xor_b32 s0, exec_lo, s1
; %bb.89:
	ds_load_u16 v9, v14 offset:2
                                        ; implicit-def: $vgpr13
; %bb.90:
	s_or_saveexec_b32 s0, s0
	v_mov_b32_e32 v10, v8
	s_xor_b32 exec_lo, exec_lo, s0
	s_cbranch_execz .LBB2_92
; %bb.91:
	ds_load_u16 v10, v13 offset:114
	s_wait_dscnt 0x1
	v_mov_b32_e32 v9, v7
.LBB2_92:
	s_or_b32 exec_lo, exec_lo, s0
	v_dual_add_nc_u32 v13, 1, v12 :: v_dual_add_nc_u32 v15, 1, v11
	s_wait_dscnt 0x0
	s_delay_alu instid0(VALU_DEP_2) | instskip(NEXT) | instid1(VALU_DEP_2)
	v_cmp_lt_u16_e64 s1, v10, v9
	v_dual_cndmask_b32 v14, v13, v12 :: v_dual_cndmask_b32 v13, v11, v15
                                        ; implicit-def: $vgpr11
	s_delay_alu instid0(VALU_DEP_1) | instskip(NEXT) | instid1(VALU_DEP_2)
	v_cmp_ge_i32_e64 s0, v14, v6
	v_cmp_lt_i32_e64 s2, v13, v3
	s_or_b32 s0, s0, s1
	s_delay_alu instid0(SALU_CYCLE_1) | instskip(NEXT) | instid1(SALU_CYCLE_1)
	s_and_b32 s0, s2, s0
	s_xor_b32 s1, s0, -1
	s_delay_alu instid0(SALU_CYCLE_1) | instskip(NEXT) | instid1(SALU_CYCLE_1)
	s_and_saveexec_b32 s2, s1
	s_xor_b32 s1, exec_lo, s2
; %bb.93:
	v_lshlrev_b32_e32 v11, 1, v14
	ds_load_u16 v11, v11 offset:2
; %bb.94:
	s_or_saveexec_b32 s1, s1
	v_mov_b32_e32 v12, v10
	s_xor_b32 exec_lo, exec_lo, s1
	s_cbranch_execz .LBB2_96
; %bb.95:
	s_wait_dscnt 0x0
	v_lshlrev_b32_e32 v11, 1, v13
	ds_load_u16 v12, v11 offset:2
	v_mov_b32_e32 v11, v9
.LBB2_96:
	s_or_b32 exec_lo, exec_lo, s1
	v_dual_add_nc_u32 v15, 1, v14 :: v_dual_add_nc_u32 v17, 1, v13
	s_wait_dscnt 0x0
	s_delay_alu instid0(VALU_DEP_2) | instskip(NEXT) | instid1(VALU_DEP_2)
	v_cmp_lt_u16_e64 s2, v12, v11
	v_dual_cndmask_b32 v16, v15, v14, s0 :: v_dual_cndmask_b32 v15, v13, v17, s0
                                        ; implicit-def: $vgpr13
	s_delay_alu instid0(VALU_DEP_1) | instskip(NEXT) | instid1(VALU_DEP_2)
	v_cmp_ge_i32_e64 s1, v16, v6
	v_cmp_lt_i32_e64 s3, v15, v3
	s_or_b32 s1, s1, s2
	s_delay_alu instid0(SALU_CYCLE_1) | instskip(NEXT) | instid1(SALU_CYCLE_1)
	s_and_b32 s1, s3, s1
	s_xor_b32 s2, s1, -1
	s_delay_alu instid0(SALU_CYCLE_1) | instskip(NEXT) | instid1(SALU_CYCLE_1)
	s_and_saveexec_b32 s3, s2
	s_xor_b32 s2, exec_lo, s3
; %bb.97:
	v_lshlrev_b32_e32 v13, 1, v16
	ds_load_u16 v13, v13 offset:2
; %bb.98:
	s_or_saveexec_b32 s2, s2
	v_mov_b32_e32 v14, v12
	s_xor_b32 exec_lo, exec_lo, s2
	s_cbranch_execz .LBB2_100
; %bb.99:
	s_wait_dscnt 0x0
	v_lshlrev_b32_e32 v13, 1, v15
	ds_load_u16 v14, v13 offset:2
	v_mov_b32_e32 v13, v11
.LBB2_100:
	s_or_b32 exec_lo, exec_lo, s2
	v_dual_add_nc_u32 v17, 1, v16 :: v_dual_add_nc_u32 v19, 1, v15
	s_wait_dscnt 0x0
	s_delay_alu instid0(VALU_DEP_2) | instskip(NEXT) | instid1(VALU_DEP_2)
	v_cmp_lt_u16_e64 s3, v14, v13
	v_dual_cndmask_b32 v18, v17, v16, s1 :: v_dual_cndmask_b32 v17, v15, v19, s1
                                        ; implicit-def: $vgpr15
	s_delay_alu instid0(VALU_DEP_1) | instskip(NEXT) | instid1(VALU_DEP_2)
	v_cmp_ge_i32_e64 s2, v18, v6
	v_cmp_lt_i32_e64 s4, v17, v3
	s_or_b32 s2, s2, s3
	s_delay_alu instid0(SALU_CYCLE_1) | instskip(NEXT) | instid1(SALU_CYCLE_1)
	s_and_b32 s2, s4, s2
	s_xor_b32 s3, s2, -1
	s_delay_alu instid0(SALU_CYCLE_1) | instskip(NEXT) | instid1(SALU_CYCLE_1)
	s_and_saveexec_b32 s4, s3
	s_xor_b32 s3, exec_lo, s4
; %bb.101:
	v_lshlrev_b32_e32 v15, 1, v18
	ds_load_u16 v15, v15 offset:2
; %bb.102:
	s_or_saveexec_b32 s3, s3
	v_mov_b32_e32 v16, v14
	s_xor_b32 exec_lo, exec_lo, s3
	s_cbranch_execz .LBB2_104
; %bb.103:
	s_wait_dscnt 0x0
	v_lshlrev_b32_e32 v15, 1, v17
	ds_load_u16 v16, v15 offset:2
	v_mov_b32_e32 v15, v13
.LBB2_104:
	s_or_b32 exec_lo, exec_lo, s3
	v_dual_add_nc_u32 v19, 1, v18 :: v_dual_add_nc_u32 v20, 1, v17
	s_wait_dscnt 0x0
	s_delay_alu instid0(VALU_DEP_2) | instskip(NEXT) | instid1(VALU_DEP_2)
	v_cmp_lt_u16_e64 s4, v16, v15
	v_dual_cndmask_b32 v18, v19, v18, s2 :: v_dual_cndmask_b32 v17, v17, v20, s2
                                        ; implicit-def: $vgpr20
	s_delay_alu instid0(VALU_DEP_1) | instskip(NEXT) | instid1(VALU_DEP_2)
	v_cmp_ge_i32_e64 s3, v18, v6
	v_cmp_lt_i32_e64 s5, v17, v3
	s_or_b32 s3, s3, s4
	s_delay_alu instid0(SALU_CYCLE_1) | instskip(NEXT) | instid1(SALU_CYCLE_1)
	s_and_b32 s3, s5, s3
	s_xor_b32 s4, s3, -1
	s_delay_alu instid0(SALU_CYCLE_1) | instskip(NEXT) | instid1(SALU_CYCLE_1)
	s_and_saveexec_b32 s5, s4
	s_xor_b32 s4, exec_lo, s5
; %bb.105:
	v_lshlrev_b32_e32 v19, 1, v18
	ds_load_u16 v20, v19 offset:2
; %bb.106:
	s_or_saveexec_b32 s4, s4
	v_mov_b32_e32 v22, v16
	s_xor_b32 exec_lo, exec_lo, s4
	s_cbranch_execz .LBB2_108
; %bb.107:
	s_wait_dscnt 0x0
	v_dual_mov_b32 v20, v15 :: v_dual_lshlrev_b32 v19, 1, v17
	ds_load_u16 v22, v19 offset:2
.LBB2_108:
	s_or_b32 exec_lo, exec_lo, s4
	v_dual_add_nc_u32 v19, 1, v18 :: v_dual_add_nc_u32 v21, 1, v17
	s_wait_dscnt 0x0
	v_cmp_lt_u16_e64 s5, v22, v20
	s_delay_alu instid0(VALU_DEP_2) | instskip(NEXT) | instid1(VALU_DEP_1)
	v_dual_cndmask_b32 v18, v19, v18, s3 :: v_dual_cndmask_b32 v19, v17, v21, s3
                                        ; implicit-def: $vgpr17
	v_cmp_ge_i32_e64 s4, v18, v6
	s_delay_alu instid0(VALU_DEP_2) | instskip(SKIP_1) | instid1(SALU_CYCLE_1)
	v_cmp_lt_i32_e64 s6, v19, v3
	s_or_b32 s4, s4, s5
	s_and_b32 s4, s6, s4
	s_delay_alu instid0(SALU_CYCLE_1) | instskip(NEXT) | instid1(SALU_CYCLE_1)
	s_xor_b32 s5, s4, -1
	s_and_saveexec_b32 s6, s5
	s_delay_alu instid0(SALU_CYCLE_1)
	s_xor_b32 s5, exec_lo, s6
; %bb.109:
	v_lshlrev_b32_e32 v17, 1, v18
	ds_load_u16 v17, v17 offset:2
; %bb.110:
	s_or_saveexec_b32 s5, s5
	v_mov_b32_e32 v21, v22
	s_xor_b32 exec_lo, exec_lo, s5
	s_cbranch_execz .LBB2_112
; %bb.111:
	s_wait_dscnt 0x0
	v_lshlrev_b32_e32 v17, 1, v19
	ds_load_u16 v21, v17 offset:2
	v_mov_b32_e32 v17, v20
.LBB2_112:
	s_or_b32 exec_lo, exec_lo, s5
	v_dual_add_nc_u32 v23, 1, v19 :: v_dual_add_nc_u32 v24, 1, v18
	v_cndmask_b32_e64 v20, v20, v22, s4
	v_and_b32_e32 v22, 0xe0, v0
	v_dual_cndmask_b32 v13, v13, v14, s2 :: v_dual_cndmask_b32 v11, v11, v12, s1
	s_delay_alu instid0(VALU_DEP_4) | instskip(SKIP_1) | instid1(VALU_DEP_4)
	v_dual_cndmask_b32 v18, v24, v18, s4 :: v_dual_cndmask_b32 v15, v15, v16, s3
	v_cndmask_b32_e64 v19, v19, v23, s4
	v_mul_u32_u24_e32 v12, 7, v22
	v_dual_cndmask_b32 v14, v9, v10, s0 :: v_dual_cndmask_b32 v8, v7, v8, vcc_lo
	s_delay_alu instid0(VALU_DEP_4)
	v_cmp_ge_i32_e64 s0, v18, v6
	s_wait_dscnt 0x0
	v_cmp_lt_u16_e64 s1, v21, v17
	v_min_u32_e32 v7, 0x690, v12
	v_min_u32_e32 v9, 0x620, v12
	v_cmp_lt_i32_e32 vcc_lo, v19, v3
	v_perm_b32 v16, v20, v15, 0x5040100
	s_or_b32 s0, s0, s1
	v_add_nc_u32_e32 v6, 0x70, v7
	v_add_nc_u32_e32 v3, 0xe0, v9
	s_and_b32 vcc_lo, vcc_lo, s0
	s_delay_alu instid0(SALU_CYCLE_1) | instskip(SKIP_1) | instid1(VALU_DEP_3)
	v_dual_cndmask_b32 v17, v17, v21, vcc_lo :: v_dual_bitop2_b32 v10, 31, v0 bitop3:0x40
	v_perm_b32 v15, v13, v11, 0x5040100
	v_sub_nc_u32_e32 v18, v3, v6
	v_perm_b32 v14, v14, v8, 0x5040100
	s_delay_alu instid0(VALU_DEP_4) | instskip(SKIP_3) | instid1(VALU_DEP_2)
	v_mul_u32_u24_e32 v9, 7, v10
	v_min_u32_e32 v10, 0x700, v12
	s_mov_b32 s1, 0
	s_mov_b32 s0, exec_lo
	v_cmp_ge_i32_e32 vcc_lo, v9, v18
	s_delay_alu instid0(VALU_DEP_2) | instskip(SKIP_3) | instid1(VALU_DEP_2)
	v_dual_sub_nc_u32 v12, v6, v10 :: v_dual_lshlrev_b32 v8, 1, v10
	v_sub_nc_u32_e32 v11, v9, v18
	s_barrier_signal -1
	s_barrier_wait -1
	v_min_i32_e32 v12, v9, v12
	s_delay_alu instid0(VALU_DEP_2)
	v_cndmask_b32_e32 v11, 0, v11, vcc_lo
	ds_store_b96 v2, v[14:16]
	ds_store_b16 v2, v17 offset:12
	s_wait_dscnt 0x0
	s_barrier_signal -1
	s_barrier_wait -1
	v_cmpx_lt_i32_e64 v11, v12
	s_cbranch_execz .LBB2_116
; %bb.113:
	v_lshlrev_b32_e32 v13, 1, v9
	s_delay_alu instid0(VALU_DEP_1)
	v_lshl_add_u32 v13, v7, 1, v13
.LBB2_114:                              ; =>This Inner Loop Header: Depth=1
	v_sub_nc_u32_e32 v14, v12, v11
	s_delay_alu instid0(VALU_DEP_1) | instskip(NEXT) | instid1(VALU_DEP_1)
	v_lshrrev_b32_e32 v14, 1, v14
	v_add_nc_u32_e32 v14, v14, v11
	s_delay_alu instid0(VALU_DEP_1) | instskip(SKIP_1) | instid1(VALU_DEP_2)
	v_not_b32_e32 v15, v14
	v_lshl_add_u32 v16, v14, 1, v8
	v_lshl_add_u32 v15, v15, 1, v13
	ds_load_u16 v16, v16
	ds_load_u16 v15, v15 offset:224
	s_wait_dscnt 0x0
	v_cmp_lt_u16_e32 vcc_lo, v15, v16
	v_dual_cndmask_b32 v12, v12, v14 :: v_dual_add_nc_u32 v17, 1, v14
	s_delay_alu instid0(VALU_DEP_1) | instskip(NEXT) | instid1(VALU_DEP_1)
	v_cndmask_b32_e32 v11, v17, v11, vcc_lo
	v_cmp_ge_i32_e32 vcc_lo, v11, v12
	s_or_b32 s1, vcc_lo, s1
	s_delay_alu instid0(SALU_CYCLE_1)
	s_and_not1_b32 exec_lo, exec_lo, s1
	s_cbranch_execnz .LBB2_114
; %bb.115:
	s_or_b32 exec_lo, exec_lo, s1
.LBB2_116:
	s_delay_alu instid0(SALU_CYCLE_1) | instskip(SKIP_3) | instid1(VALU_DEP_3)
	s_or_b32 exec_lo, exec_lo, s0
	v_dual_add_nc_u32 v7, v7, v9 :: v_dual_add_nc_u32 v9, v6, v9
	v_lshl_add_u32 v14, v11, 1, v8
	v_add_nc_u32_e32 v12, v11, v10
	v_dual_sub_nc_u32 v7, v7, v11 :: v_dual_sub_nc_u32 v11, v9, v11
                                        ; implicit-def: $vgpr9
	s_delay_alu instid0(VALU_DEP_2) | instskip(NEXT) | instid1(VALU_DEP_2)
	v_cmp_le_i32_e32 vcc_lo, v6, v12
	v_lshlrev_b32_e32 v13, 1, v7
	s_delay_alu instid0(VALU_DEP_3)
	v_cmp_gt_i32_e64 s1, v3, v11
	ds_load_u16 v7, v14
	ds_load_u16 v8, v13 offset:224
	s_wait_dscnt 0x0
	v_cmp_lt_u16_e64 s0, v8, v7
	s_or_b32 s0, vcc_lo, s0
	s_delay_alu instid0(SALU_CYCLE_1) | instskip(NEXT) | instid1(SALU_CYCLE_1)
	s_and_b32 vcc_lo, s1, s0
	s_xor_b32 s0, vcc_lo, -1
	s_delay_alu instid0(SALU_CYCLE_1) | instskip(NEXT) | instid1(SALU_CYCLE_1)
	s_and_saveexec_b32 s1, s0
	s_xor_b32 s0, exec_lo, s1
; %bb.117:
	ds_load_u16 v9, v14 offset:2
                                        ; implicit-def: $vgpr13
; %bb.118:
	s_or_saveexec_b32 s0, s0
	v_mov_b32_e32 v10, v8
	s_xor_b32 exec_lo, exec_lo, s0
	s_cbranch_execz .LBB2_120
; %bb.119:
	ds_load_u16 v10, v13 offset:226
	s_wait_dscnt 0x1
	v_mov_b32_e32 v9, v7
.LBB2_120:
	s_or_b32 exec_lo, exec_lo, s0
	v_dual_add_nc_u32 v13, 1, v12 :: v_dual_add_nc_u32 v15, 1, v11
	s_wait_dscnt 0x0
	s_delay_alu instid0(VALU_DEP_2) | instskip(NEXT) | instid1(VALU_DEP_2)
	v_cmp_lt_u16_e64 s1, v10, v9
	v_dual_cndmask_b32 v14, v13, v12 :: v_dual_cndmask_b32 v13, v11, v15
                                        ; implicit-def: $vgpr11
	s_delay_alu instid0(VALU_DEP_1) | instskip(NEXT) | instid1(VALU_DEP_2)
	v_cmp_ge_i32_e64 s0, v14, v6
	v_cmp_lt_i32_e64 s2, v13, v3
	s_or_b32 s0, s0, s1
	s_delay_alu instid0(SALU_CYCLE_1) | instskip(NEXT) | instid1(SALU_CYCLE_1)
	s_and_b32 s0, s2, s0
	s_xor_b32 s1, s0, -1
	s_delay_alu instid0(SALU_CYCLE_1) | instskip(NEXT) | instid1(SALU_CYCLE_1)
	s_and_saveexec_b32 s2, s1
	s_xor_b32 s1, exec_lo, s2
; %bb.121:
	v_lshlrev_b32_e32 v11, 1, v14
	ds_load_u16 v11, v11 offset:2
; %bb.122:
	s_or_saveexec_b32 s1, s1
	v_mov_b32_e32 v12, v10
	s_xor_b32 exec_lo, exec_lo, s1
	s_cbranch_execz .LBB2_124
; %bb.123:
	s_wait_dscnt 0x0
	v_lshlrev_b32_e32 v11, 1, v13
	ds_load_u16 v12, v11 offset:2
	v_mov_b32_e32 v11, v9
.LBB2_124:
	s_or_b32 exec_lo, exec_lo, s1
	v_dual_add_nc_u32 v15, 1, v14 :: v_dual_add_nc_u32 v17, 1, v13
	s_wait_dscnt 0x0
	s_delay_alu instid0(VALU_DEP_2) | instskip(NEXT) | instid1(VALU_DEP_2)
	v_cmp_lt_u16_e64 s2, v12, v11
	v_dual_cndmask_b32 v16, v15, v14, s0 :: v_dual_cndmask_b32 v15, v13, v17, s0
                                        ; implicit-def: $vgpr13
	s_delay_alu instid0(VALU_DEP_1) | instskip(NEXT) | instid1(VALU_DEP_2)
	v_cmp_ge_i32_e64 s1, v16, v6
	v_cmp_lt_i32_e64 s3, v15, v3
	s_or_b32 s1, s1, s2
	s_delay_alu instid0(SALU_CYCLE_1) | instskip(NEXT) | instid1(SALU_CYCLE_1)
	s_and_b32 s1, s3, s1
	s_xor_b32 s2, s1, -1
	s_delay_alu instid0(SALU_CYCLE_1) | instskip(NEXT) | instid1(SALU_CYCLE_1)
	s_and_saveexec_b32 s3, s2
	s_xor_b32 s2, exec_lo, s3
; %bb.125:
	v_lshlrev_b32_e32 v13, 1, v16
	ds_load_u16 v13, v13 offset:2
; %bb.126:
	s_or_saveexec_b32 s2, s2
	v_mov_b32_e32 v14, v12
	s_xor_b32 exec_lo, exec_lo, s2
	s_cbranch_execz .LBB2_128
; %bb.127:
	s_wait_dscnt 0x0
	v_lshlrev_b32_e32 v13, 1, v15
	ds_load_u16 v14, v13 offset:2
	v_mov_b32_e32 v13, v11
.LBB2_128:
	s_or_b32 exec_lo, exec_lo, s2
	v_dual_add_nc_u32 v17, 1, v16 :: v_dual_add_nc_u32 v19, 1, v15
	s_wait_dscnt 0x0
	s_delay_alu instid0(VALU_DEP_2) | instskip(NEXT) | instid1(VALU_DEP_2)
	v_cmp_lt_u16_e64 s3, v14, v13
	v_dual_cndmask_b32 v18, v17, v16, s1 :: v_dual_cndmask_b32 v17, v15, v19, s1
                                        ; implicit-def: $vgpr15
	s_delay_alu instid0(VALU_DEP_1) | instskip(NEXT) | instid1(VALU_DEP_2)
	v_cmp_ge_i32_e64 s2, v18, v6
	v_cmp_lt_i32_e64 s4, v17, v3
	s_or_b32 s2, s2, s3
	s_delay_alu instid0(SALU_CYCLE_1) | instskip(NEXT) | instid1(SALU_CYCLE_1)
	s_and_b32 s2, s4, s2
	s_xor_b32 s3, s2, -1
	s_delay_alu instid0(SALU_CYCLE_1) | instskip(NEXT) | instid1(SALU_CYCLE_1)
	s_and_saveexec_b32 s4, s3
	s_xor_b32 s3, exec_lo, s4
; %bb.129:
	v_lshlrev_b32_e32 v15, 1, v18
	ds_load_u16 v15, v15 offset:2
; %bb.130:
	s_or_saveexec_b32 s3, s3
	v_mov_b32_e32 v16, v14
	s_xor_b32 exec_lo, exec_lo, s3
	s_cbranch_execz .LBB2_132
; %bb.131:
	s_wait_dscnt 0x0
	v_lshlrev_b32_e32 v15, 1, v17
	ds_load_u16 v16, v15 offset:2
	v_mov_b32_e32 v15, v13
.LBB2_132:
	s_or_b32 exec_lo, exec_lo, s3
	v_dual_add_nc_u32 v19, 1, v18 :: v_dual_add_nc_u32 v20, 1, v17
	s_wait_dscnt 0x0
	s_delay_alu instid0(VALU_DEP_2) | instskip(NEXT) | instid1(VALU_DEP_2)
	v_cmp_lt_u16_e64 s4, v16, v15
	v_dual_cndmask_b32 v18, v19, v18, s2 :: v_dual_cndmask_b32 v17, v17, v20, s2
                                        ; implicit-def: $vgpr20
	s_delay_alu instid0(VALU_DEP_1) | instskip(NEXT) | instid1(VALU_DEP_2)
	v_cmp_ge_i32_e64 s3, v18, v6
	v_cmp_lt_i32_e64 s5, v17, v3
	s_or_b32 s3, s3, s4
	s_delay_alu instid0(SALU_CYCLE_1) | instskip(NEXT) | instid1(SALU_CYCLE_1)
	s_and_b32 s3, s5, s3
	s_xor_b32 s4, s3, -1
	s_delay_alu instid0(SALU_CYCLE_1) | instskip(NEXT) | instid1(SALU_CYCLE_1)
	s_and_saveexec_b32 s5, s4
	s_xor_b32 s4, exec_lo, s5
; %bb.133:
	v_lshlrev_b32_e32 v19, 1, v18
	ds_load_u16 v20, v19 offset:2
; %bb.134:
	s_or_saveexec_b32 s4, s4
	v_mov_b32_e32 v22, v16
	s_xor_b32 exec_lo, exec_lo, s4
	s_cbranch_execz .LBB2_136
; %bb.135:
	s_wait_dscnt 0x0
	v_dual_mov_b32 v20, v15 :: v_dual_lshlrev_b32 v19, 1, v17
	ds_load_u16 v22, v19 offset:2
.LBB2_136:
	s_or_b32 exec_lo, exec_lo, s4
	v_dual_add_nc_u32 v19, 1, v18 :: v_dual_add_nc_u32 v21, 1, v17
	s_wait_dscnt 0x0
	v_cmp_lt_u16_e64 s5, v22, v20
	s_delay_alu instid0(VALU_DEP_2) | instskip(NEXT) | instid1(VALU_DEP_1)
	v_dual_cndmask_b32 v18, v19, v18, s3 :: v_dual_cndmask_b32 v19, v17, v21, s3
                                        ; implicit-def: $vgpr17
	v_cmp_ge_i32_e64 s4, v18, v6
	s_delay_alu instid0(VALU_DEP_2) | instskip(SKIP_1) | instid1(SALU_CYCLE_1)
	v_cmp_lt_i32_e64 s6, v19, v3
	s_or_b32 s4, s4, s5
	s_and_b32 s4, s6, s4
	s_delay_alu instid0(SALU_CYCLE_1) | instskip(NEXT) | instid1(SALU_CYCLE_1)
	s_xor_b32 s5, s4, -1
	s_and_saveexec_b32 s6, s5
	s_delay_alu instid0(SALU_CYCLE_1)
	s_xor_b32 s5, exec_lo, s6
; %bb.137:
	v_lshlrev_b32_e32 v17, 1, v18
	ds_load_u16 v17, v17 offset:2
; %bb.138:
	s_or_saveexec_b32 s5, s5
	v_mov_b32_e32 v21, v22
	s_xor_b32 exec_lo, exec_lo, s5
	s_cbranch_execz .LBB2_140
; %bb.139:
	s_wait_dscnt 0x0
	v_lshlrev_b32_e32 v17, 1, v19
	ds_load_u16 v21, v17 offset:2
	v_mov_b32_e32 v17, v20
.LBB2_140:
	s_or_b32 exec_lo, exec_lo, s5
	v_dual_add_nc_u32 v23, 1, v19 :: v_dual_add_nc_u32 v24, 1, v18
	v_cndmask_b32_e64 v20, v20, v22, s4
	v_and_b32_e32 v22, 0xc0, v0
	v_dual_cndmask_b32 v13, v13, v14, s2 :: v_dual_cndmask_b32 v11, v11, v12, s1
	s_delay_alu instid0(VALU_DEP_4) | instskip(SKIP_1) | instid1(VALU_DEP_4)
	v_dual_cndmask_b32 v18, v24, v18, s4 :: v_dual_cndmask_b32 v15, v15, v16, s3
	v_cndmask_b32_e64 v19, v19, v23, s4
	v_mul_u32_u24_e32 v12, 7, v22
	v_dual_cndmask_b32 v14, v9, v10, s0 :: v_dual_cndmask_b32 v8, v7, v8, vcc_lo
	s_delay_alu instid0(VALU_DEP_4)
	v_cmp_ge_i32_e64 s0, v18, v6
	s_wait_dscnt 0x0
	v_cmp_lt_u16_e64 s1, v21, v17
	v_min_u32_e32 v7, 0x620, v12
	v_min_u32_e32 v9, 0x540, v12
	v_cmp_lt_i32_e32 vcc_lo, v19, v3
	v_perm_b32 v16, v20, v15, 0x5040100
	s_or_b32 s0, s0, s1
	v_add_nc_u32_e32 v6, 0xe0, v7
	v_add_nc_u32_e32 v3, 0x1c0, v9
	s_and_b32 vcc_lo, vcc_lo, s0
	s_delay_alu instid0(SALU_CYCLE_1) | instskip(SKIP_1) | instid1(VALU_DEP_3)
	v_dual_cndmask_b32 v17, v17, v21, vcc_lo :: v_dual_bitop2_b32 v10, 63, v0 bitop3:0x40
	v_perm_b32 v15, v13, v11, 0x5040100
	v_sub_nc_u32_e32 v18, v3, v6
	v_perm_b32 v14, v14, v8, 0x5040100
	s_delay_alu instid0(VALU_DEP_4) | instskip(SKIP_3) | instid1(VALU_DEP_2)
	v_mul_u32_u24_e32 v9, 7, v10
	v_min_u32_e32 v10, 0x700, v12
	s_mov_b32 s1, 0
	s_mov_b32 s0, exec_lo
	v_cmp_ge_i32_e32 vcc_lo, v9, v18
	s_delay_alu instid0(VALU_DEP_2) | instskip(SKIP_3) | instid1(VALU_DEP_2)
	v_dual_sub_nc_u32 v12, v6, v10 :: v_dual_lshlrev_b32 v8, 1, v10
	v_sub_nc_u32_e32 v11, v9, v18
	s_barrier_signal -1
	s_barrier_wait -1
	v_min_i32_e32 v12, v9, v12
	s_delay_alu instid0(VALU_DEP_2)
	v_cndmask_b32_e32 v11, 0, v11, vcc_lo
	ds_store_b96 v2, v[14:16]
	ds_store_b16 v2, v17 offset:12
	s_wait_dscnt 0x0
	s_barrier_signal -1
	s_barrier_wait -1
	v_cmpx_lt_i32_e64 v11, v12
	s_cbranch_execz .LBB2_144
; %bb.141:
	v_lshlrev_b32_e32 v13, 1, v9
	s_delay_alu instid0(VALU_DEP_1)
	v_lshl_add_u32 v13, v7, 1, v13
.LBB2_142:                              ; =>This Inner Loop Header: Depth=1
	v_sub_nc_u32_e32 v14, v12, v11
	s_delay_alu instid0(VALU_DEP_1) | instskip(NEXT) | instid1(VALU_DEP_1)
	v_lshrrev_b32_e32 v14, 1, v14
	v_add_nc_u32_e32 v14, v14, v11
	s_delay_alu instid0(VALU_DEP_1) | instskip(SKIP_1) | instid1(VALU_DEP_2)
	v_not_b32_e32 v15, v14
	v_lshl_add_u32 v16, v14, 1, v8
	v_lshl_add_u32 v15, v15, 1, v13
	ds_load_u16 v16, v16
	ds_load_u16 v15, v15 offset:448
	s_wait_dscnt 0x0
	v_cmp_lt_u16_e32 vcc_lo, v15, v16
	v_dual_cndmask_b32 v12, v12, v14 :: v_dual_add_nc_u32 v17, 1, v14
	s_delay_alu instid0(VALU_DEP_1) | instskip(NEXT) | instid1(VALU_DEP_1)
	v_cndmask_b32_e32 v11, v17, v11, vcc_lo
	v_cmp_ge_i32_e32 vcc_lo, v11, v12
	s_or_b32 s1, vcc_lo, s1
	s_delay_alu instid0(SALU_CYCLE_1)
	s_and_not1_b32 exec_lo, exec_lo, s1
	s_cbranch_execnz .LBB2_142
; %bb.143:
	s_or_b32 exec_lo, exec_lo, s1
.LBB2_144:
	s_delay_alu instid0(SALU_CYCLE_1) | instskip(SKIP_3) | instid1(VALU_DEP_3)
	s_or_b32 exec_lo, exec_lo, s0
	v_dual_add_nc_u32 v7, v7, v9 :: v_dual_add_nc_u32 v9, v6, v9
	v_lshl_add_u32 v14, v11, 1, v8
	v_add_nc_u32_e32 v12, v11, v10
	v_dual_sub_nc_u32 v7, v7, v11 :: v_dual_sub_nc_u32 v11, v9, v11
                                        ; implicit-def: $vgpr9
	s_delay_alu instid0(VALU_DEP_2) | instskip(NEXT) | instid1(VALU_DEP_2)
	v_cmp_le_i32_e32 vcc_lo, v6, v12
	v_lshlrev_b32_e32 v13, 1, v7
	s_delay_alu instid0(VALU_DEP_3)
	v_cmp_gt_i32_e64 s1, v3, v11
	ds_load_u16 v7, v14
	ds_load_u16 v8, v13 offset:448
	s_wait_dscnt 0x0
	v_cmp_lt_u16_e64 s0, v8, v7
	s_or_b32 s0, vcc_lo, s0
	s_delay_alu instid0(SALU_CYCLE_1) | instskip(NEXT) | instid1(SALU_CYCLE_1)
	s_and_b32 vcc_lo, s1, s0
	s_xor_b32 s0, vcc_lo, -1
	s_delay_alu instid0(SALU_CYCLE_1) | instskip(NEXT) | instid1(SALU_CYCLE_1)
	s_and_saveexec_b32 s1, s0
	s_xor_b32 s0, exec_lo, s1
; %bb.145:
	ds_load_u16 v9, v14 offset:2
                                        ; implicit-def: $vgpr13
; %bb.146:
	s_or_saveexec_b32 s0, s0
	v_mov_b32_e32 v10, v8
	s_xor_b32 exec_lo, exec_lo, s0
	s_cbranch_execz .LBB2_148
; %bb.147:
	ds_load_u16 v10, v13 offset:450
	s_wait_dscnt 0x1
	v_mov_b32_e32 v9, v7
.LBB2_148:
	s_or_b32 exec_lo, exec_lo, s0
	v_dual_add_nc_u32 v13, 1, v12 :: v_dual_add_nc_u32 v15, 1, v11
	s_wait_dscnt 0x0
	s_delay_alu instid0(VALU_DEP_2) | instskip(NEXT) | instid1(VALU_DEP_2)
	v_cmp_lt_u16_e64 s1, v10, v9
	v_dual_cndmask_b32 v14, v13, v12 :: v_dual_cndmask_b32 v13, v11, v15
                                        ; implicit-def: $vgpr11
	s_delay_alu instid0(VALU_DEP_1) | instskip(NEXT) | instid1(VALU_DEP_2)
	v_cmp_ge_i32_e64 s0, v14, v6
	v_cmp_lt_i32_e64 s2, v13, v3
	s_or_b32 s0, s0, s1
	s_delay_alu instid0(SALU_CYCLE_1) | instskip(NEXT) | instid1(SALU_CYCLE_1)
	s_and_b32 s0, s2, s0
	s_xor_b32 s1, s0, -1
	s_delay_alu instid0(SALU_CYCLE_1) | instskip(NEXT) | instid1(SALU_CYCLE_1)
	s_and_saveexec_b32 s2, s1
	s_xor_b32 s1, exec_lo, s2
; %bb.149:
	v_lshlrev_b32_e32 v11, 1, v14
	ds_load_u16 v11, v11 offset:2
; %bb.150:
	s_or_saveexec_b32 s1, s1
	v_mov_b32_e32 v12, v10
	s_xor_b32 exec_lo, exec_lo, s1
	s_cbranch_execz .LBB2_152
; %bb.151:
	s_wait_dscnt 0x0
	v_lshlrev_b32_e32 v11, 1, v13
	ds_load_u16 v12, v11 offset:2
	v_mov_b32_e32 v11, v9
.LBB2_152:
	s_or_b32 exec_lo, exec_lo, s1
	v_dual_add_nc_u32 v15, 1, v14 :: v_dual_add_nc_u32 v17, 1, v13
	s_wait_dscnt 0x0
	s_delay_alu instid0(VALU_DEP_2) | instskip(NEXT) | instid1(VALU_DEP_2)
	v_cmp_lt_u16_e64 s2, v12, v11
	v_dual_cndmask_b32 v16, v15, v14, s0 :: v_dual_cndmask_b32 v15, v13, v17, s0
                                        ; implicit-def: $vgpr13
	s_delay_alu instid0(VALU_DEP_1) | instskip(NEXT) | instid1(VALU_DEP_2)
	v_cmp_ge_i32_e64 s1, v16, v6
	v_cmp_lt_i32_e64 s3, v15, v3
	s_or_b32 s1, s1, s2
	s_delay_alu instid0(SALU_CYCLE_1) | instskip(NEXT) | instid1(SALU_CYCLE_1)
	s_and_b32 s1, s3, s1
	s_xor_b32 s2, s1, -1
	s_delay_alu instid0(SALU_CYCLE_1) | instskip(NEXT) | instid1(SALU_CYCLE_1)
	s_and_saveexec_b32 s3, s2
	s_xor_b32 s2, exec_lo, s3
; %bb.153:
	v_lshlrev_b32_e32 v13, 1, v16
	ds_load_u16 v13, v13 offset:2
; %bb.154:
	s_or_saveexec_b32 s2, s2
	v_mov_b32_e32 v14, v12
	s_xor_b32 exec_lo, exec_lo, s2
	s_cbranch_execz .LBB2_156
; %bb.155:
	s_wait_dscnt 0x0
	v_lshlrev_b32_e32 v13, 1, v15
	ds_load_u16 v14, v13 offset:2
	v_mov_b32_e32 v13, v11
.LBB2_156:
	s_or_b32 exec_lo, exec_lo, s2
	v_dual_add_nc_u32 v17, 1, v16 :: v_dual_add_nc_u32 v19, 1, v15
	s_wait_dscnt 0x0
	s_delay_alu instid0(VALU_DEP_2) | instskip(NEXT) | instid1(VALU_DEP_2)
	v_cmp_lt_u16_e64 s3, v14, v13
	v_dual_cndmask_b32 v18, v17, v16, s1 :: v_dual_cndmask_b32 v17, v15, v19, s1
                                        ; implicit-def: $vgpr15
	s_delay_alu instid0(VALU_DEP_1) | instskip(NEXT) | instid1(VALU_DEP_2)
	v_cmp_ge_i32_e64 s2, v18, v6
	v_cmp_lt_i32_e64 s4, v17, v3
	s_or_b32 s2, s2, s3
	s_delay_alu instid0(SALU_CYCLE_1) | instskip(NEXT) | instid1(SALU_CYCLE_1)
	s_and_b32 s2, s4, s2
	s_xor_b32 s3, s2, -1
	s_delay_alu instid0(SALU_CYCLE_1) | instskip(NEXT) | instid1(SALU_CYCLE_1)
	s_and_saveexec_b32 s4, s3
	s_xor_b32 s3, exec_lo, s4
; %bb.157:
	v_lshlrev_b32_e32 v15, 1, v18
	ds_load_u16 v15, v15 offset:2
; %bb.158:
	s_or_saveexec_b32 s3, s3
	v_mov_b32_e32 v16, v14
	s_xor_b32 exec_lo, exec_lo, s3
	s_cbranch_execz .LBB2_160
; %bb.159:
	s_wait_dscnt 0x0
	v_lshlrev_b32_e32 v15, 1, v17
	ds_load_u16 v16, v15 offset:2
	v_mov_b32_e32 v15, v13
.LBB2_160:
	s_or_b32 exec_lo, exec_lo, s3
	v_dual_add_nc_u32 v19, 1, v18 :: v_dual_add_nc_u32 v20, 1, v17
	s_wait_dscnt 0x0
	s_delay_alu instid0(VALU_DEP_2) | instskip(NEXT) | instid1(VALU_DEP_2)
	v_cmp_lt_u16_e64 s4, v16, v15
	v_dual_cndmask_b32 v18, v19, v18, s2 :: v_dual_cndmask_b32 v17, v17, v20, s2
                                        ; implicit-def: $vgpr20
	s_delay_alu instid0(VALU_DEP_1) | instskip(NEXT) | instid1(VALU_DEP_2)
	v_cmp_ge_i32_e64 s3, v18, v6
	v_cmp_lt_i32_e64 s5, v17, v3
	s_or_b32 s3, s3, s4
	s_delay_alu instid0(SALU_CYCLE_1) | instskip(NEXT) | instid1(SALU_CYCLE_1)
	s_and_b32 s3, s5, s3
	s_xor_b32 s4, s3, -1
	s_delay_alu instid0(SALU_CYCLE_1) | instskip(NEXT) | instid1(SALU_CYCLE_1)
	s_and_saveexec_b32 s5, s4
	s_xor_b32 s4, exec_lo, s5
; %bb.161:
	v_lshlrev_b32_e32 v19, 1, v18
	ds_load_u16 v20, v19 offset:2
; %bb.162:
	s_or_saveexec_b32 s4, s4
	v_mov_b32_e32 v22, v16
	s_xor_b32 exec_lo, exec_lo, s4
	s_cbranch_execz .LBB2_164
; %bb.163:
	s_wait_dscnt 0x0
	v_dual_mov_b32 v20, v15 :: v_dual_lshlrev_b32 v19, 1, v17
	ds_load_u16 v22, v19 offset:2
.LBB2_164:
	s_or_b32 exec_lo, exec_lo, s4
	v_dual_add_nc_u32 v19, 1, v18 :: v_dual_add_nc_u32 v21, 1, v17
	s_wait_dscnt 0x0
	v_cmp_lt_u16_e64 s5, v22, v20
	s_delay_alu instid0(VALU_DEP_2) | instskip(NEXT) | instid1(VALU_DEP_1)
	v_dual_cndmask_b32 v18, v19, v18, s3 :: v_dual_cndmask_b32 v19, v17, v21, s3
                                        ; implicit-def: $vgpr17
	v_cmp_ge_i32_e64 s4, v18, v6
	s_delay_alu instid0(VALU_DEP_2) | instskip(SKIP_1) | instid1(SALU_CYCLE_1)
	v_cmp_lt_i32_e64 s6, v19, v3
	s_or_b32 s4, s4, s5
	s_and_b32 s4, s6, s4
	s_delay_alu instid0(SALU_CYCLE_1) | instskip(NEXT) | instid1(SALU_CYCLE_1)
	s_xor_b32 s5, s4, -1
	s_and_saveexec_b32 s6, s5
	s_delay_alu instid0(SALU_CYCLE_1)
	s_xor_b32 s5, exec_lo, s6
; %bb.165:
	v_lshlrev_b32_e32 v17, 1, v18
	ds_load_u16 v17, v17 offset:2
; %bb.166:
	s_or_saveexec_b32 s5, s5
	v_mov_b32_e32 v21, v22
	s_xor_b32 exec_lo, exec_lo, s5
	s_cbranch_execz .LBB2_168
; %bb.167:
	s_wait_dscnt 0x0
	v_lshlrev_b32_e32 v17, 1, v19
	ds_load_u16 v21, v17 offset:2
	v_mov_b32_e32 v17, v20
.LBB2_168:
	s_or_b32 exec_lo, exec_lo, s5
	v_dual_add_nc_u32 v23, 1, v19 :: v_dual_add_nc_u32 v24, 1, v18
	v_cndmask_b32_e64 v20, v20, v22, s4
	v_and_b32_e32 v22, 0x80, v0
	v_dual_cndmask_b32 v13, v13, v14, s2 :: v_dual_cndmask_b32 v11, v11, v12, s1
	s_delay_alu instid0(VALU_DEP_4) | instskip(SKIP_1) | instid1(VALU_DEP_4)
	v_dual_cndmask_b32 v18, v24, v18, s4 :: v_dual_cndmask_b32 v15, v15, v16, s3
	v_cndmask_b32_e64 v19, v19, v23, s4
	v_mul_u32_u24_e32 v12, 7, v22
	v_dual_cndmask_b32 v10, v9, v10, s0 :: v_dual_cndmask_b32 v7, v7, v8, vcc_lo
	s_delay_alu instid0(VALU_DEP_4)
	v_cmp_ge_i32_e64 s0, v18, v6
	s_wait_dscnt 0x0
	v_cmp_lt_u16_e64 s1, v21, v17
	v_min_u32_e32 v6, 0x540, v12
	v_min_u32_e32 v8, 0x380, v12
	v_cmp_lt_i32_e32 vcc_lo, v19, v3
	v_and_b32_e32 v9, 0x7f, v0
	s_or_b32 s0, s0, s1
	v_perm_b32 v14, v20, v15, 0x5040100
	v_add_nc_u32_e32 v0, 0x380, v8
	s_and_b32 vcc_lo, vcc_lo, s0
	v_dual_cndmask_b32 v16, v17, v21 :: v_dual_add_nc_u32 v3, 0x1c0, v6
	v_mul_u32_u24_e32 v8, 7, v9
	v_min_u32_e32 v9, 0x700, v12
	v_perm_b32 v13, v13, v11, 0x5040100
	s_delay_alu instid0(VALU_DEP_4)
	v_sub_nc_u32_e32 v17, v0, v3
	v_perm_b32 v12, v10, v7, 0x5040100
	s_mov_b32 s1, 0
	v_sub_nc_u32_e32 v15, v3, v9
	s_mov_b32 s0, exec_lo
	v_sub_nc_u32_e32 v11, v8, v17
	v_cmp_ge_i32_e32 vcc_lo, v8, v17
	v_lshlrev_b32_e32 v7, 1, v9
	s_barrier_signal -1
	s_barrier_wait -1
	v_cndmask_b32_e32 v10, 0, v11, vcc_lo
	v_min_i32_e32 v11, v8, v15
	ds_store_b96 v2, v[12:14]
	ds_store_b16 v2, v16 offset:12
	s_wait_dscnt 0x0
	s_barrier_signal -1
	s_barrier_wait -1
	v_cmpx_lt_i32_e64 v10, v11
	s_cbranch_execz .LBB2_172
; %bb.169:
	v_lshlrev_b32_e32 v12, 1, v8
	s_delay_alu instid0(VALU_DEP_1)
	v_lshl_add_u32 v12, v6, 1, v12
.LBB2_170:                              ; =>This Inner Loop Header: Depth=1
	v_sub_nc_u32_e32 v13, v11, v10
	s_delay_alu instid0(VALU_DEP_1) | instskip(NEXT) | instid1(VALU_DEP_1)
	v_lshrrev_b32_e32 v13, 1, v13
	v_add_nc_u32_e32 v13, v13, v10
	s_delay_alu instid0(VALU_DEP_1) | instskip(SKIP_1) | instid1(VALU_DEP_2)
	v_not_b32_e32 v14, v13
	v_lshl_add_u32 v15, v13, 1, v7
	v_lshl_add_u32 v14, v14, 1, v12
	ds_load_u16 v15, v15
	ds_load_u16 v14, v14 offset:896
	s_wait_dscnt 0x0
	v_cmp_lt_u16_e32 vcc_lo, v14, v15
	v_dual_cndmask_b32 v11, v11, v13 :: v_dual_add_nc_u32 v16, 1, v13
	s_delay_alu instid0(VALU_DEP_1) | instskip(NEXT) | instid1(VALU_DEP_1)
	v_cndmask_b32_e32 v10, v16, v10, vcc_lo
	v_cmp_ge_i32_e32 vcc_lo, v10, v11
	s_or_b32 s1, vcc_lo, s1
	s_delay_alu instid0(SALU_CYCLE_1)
	s_and_not1_b32 exec_lo, exec_lo, s1
	s_cbranch_execnz .LBB2_170
; %bb.171:
	s_or_b32 exec_lo, exec_lo, s1
.LBB2_172:
	s_delay_alu instid0(SALU_CYCLE_1) | instskip(SKIP_3) | instid1(VALU_DEP_3)
	s_or_b32 exec_lo, exec_lo, s0
	v_dual_add_nc_u32 v6, v6, v8 :: v_dual_add_nc_u32 v8, v3, v8
	v_lshl_add_u32 v13, v10, 1, v7
	v_add_nc_u32_e32 v11, v10, v9
	v_dual_sub_nc_u32 v6, v6, v10 :: v_dual_sub_nc_u32 v10, v8, v10
                                        ; implicit-def: $vgpr8
	s_delay_alu instid0(VALU_DEP_2) | instskip(NEXT) | instid1(VALU_DEP_2)
	v_cmp_le_i32_e32 vcc_lo, v3, v11
	v_lshlrev_b32_e32 v12, 1, v6
	s_delay_alu instid0(VALU_DEP_3)
	v_cmp_gt_i32_e64 s1, v0, v10
	ds_load_u16 v6, v13
	ds_load_u16 v7, v12 offset:896
	s_wait_dscnt 0x0
	v_cmp_lt_u16_e64 s0, v7, v6
	s_or_b32 s0, vcc_lo, s0
	s_delay_alu instid0(SALU_CYCLE_1) | instskip(NEXT) | instid1(SALU_CYCLE_1)
	s_and_b32 vcc_lo, s1, s0
	s_xor_b32 s0, vcc_lo, -1
	s_delay_alu instid0(SALU_CYCLE_1) | instskip(NEXT) | instid1(SALU_CYCLE_1)
	s_and_saveexec_b32 s1, s0
	s_xor_b32 s0, exec_lo, s1
; %bb.173:
	ds_load_u16 v8, v13 offset:2
                                        ; implicit-def: $vgpr12
; %bb.174:
	s_or_saveexec_b32 s0, s0
	v_mov_b32_e32 v9, v7
	s_xor_b32 exec_lo, exec_lo, s0
	s_cbranch_execz .LBB2_176
; %bb.175:
	ds_load_u16 v9, v12 offset:898
	s_wait_dscnt 0x1
	v_mov_b32_e32 v8, v6
.LBB2_176:
	s_or_b32 exec_lo, exec_lo, s0
	v_dual_add_nc_u32 v12, 1, v11 :: v_dual_add_nc_u32 v14, 1, v10
	s_wait_dscnt 0x0
	s_delay_alu instid0(VALU_DEP_2) | instskip(NEXT) | instid1(VALU_DEP_2)
	v_cmp_lt_u16_e64 s1, v9, v8
	v_dual_cndmask_b32 v13, v12, v11 :: v_dual_cndmask_b32 v12, v10, v14
                                        ; implicit-def: $vgpr10
	s_delay_alu instid0(VALU_DEP_1) | instskip(NEXT) | instid1(VALU_DEP_2)
	v_cmp_ge_i32_e64 s0, v13, v3
	v_cmp_lt_i32_e64 s2, v12, v0
	s_or_b32 s0, s0, s1
	s_delay_alu instid0(SALU_CYCLE_1) | instskip(NEXT) | instid1(SALU_CYCLE_1)
	s_and_b32 s0, s2, s0
	s_xor_b32 s1, s0, -1
	s_delay_alu instid0(SALU_CYCLE_1) | instskip(NEXT) | instid1(SALU_CYCLE_1)
	s_and_saveexec_b32 s2, s1
	s_xor_b32 s1, exec_lo, s2
; %bb.177:
	v_lshlrev_b32_e32 v10, 1, v13
	ds_load_u16 v10, v10 offset:2
; %bb.178:
	s_or_saveexec_b32 s1, s1
	v_mov_b32_e32 v11, v9
	s_xor_b32 exec_lo, exec_lo, s1
	s_cbranch_execz .LBB2_180
; %bb.179:
	s_wait_dscnt 0x0
	v_lshlrev_b32_e32 v10, 1, v12
	ds_load_u16 v11, v10 offset:2
	v_mov_b32_e32 v10, v8
.LBB2_180:
	s_or_b32 exec_lo, exec_lo, s1
	v_dual_add_nc_u32 v14, 1, v13 :: v_dual_add_nc_u32 v16, 1, v12
	s_wait_dscnt 0x0
	s_delay_alu instid0(VALU_DEP_2) | instskip(NEXT) | instid1(VALU_DEP_2)
	v_cmp_lt_u16_e64 s2, v11, v10
	v_dual_cndmask_b32 v15, v14, v13, s0 :: v_dual_cndmask_b32 v14, v12, v16, s0
                                        ; implicit-def: $vgpr12
	s_delay_alu instid0(VALU_DEP_1) | instskip(NEXT) | instid1(VALU_DEP_2)
	v_cmp_ge_i32_e64 s1, v15, v3
	v_cmp_lt_i32_e64 s3, v14, v0
	s_or_b32 s1, s1, s2
	s_delay_alu instid0(SALU_CYCLE_1) | instskip(NEXT) | instid1(SALU_CYCLE_1)
	s_and_b32 s1, s3, s1
	s_xor_b32 s2, s1, -1
	s_delay_alu instid0(SALU_CYCLE_1) | instskip(NEXT) | instid1(SALU_CYCLE_1)
	s_and_saveexec_b32 s3, s2
	s_xor_b32 s2, exec_lo, s3
; %bb.181:
	v_lshlrev_b32_e32 v12, 1, v15
	ds_load_u16 v12, v12 offset:2
; %bb.182:
	s_or_saveexec_b32 s2, s2
	v_mov_b32_e32 v13, v11
	s_xor_b32 exec_lo, exec_lo, s2
	s_cbranch_execz .LBB2_184
; %bb.183:
	s_wait_dscnt 0x0
	v_lshlrev_b32_e32 v12, 1, v14
	ds_load_u16 v13, v12 offset:2
	v_mov_b32_e32 v12, v10
.LBB2_184:
	s_or_b32 exec_lo, exec_lo, s2
	v_dual_add_nc_u32 v16, 1, v15 :: v_dual_add_nc_u32 v18, 1, v14
	s_wait_dscnt 0x0
	s_delay_alu instid0(VALU_DEP_2) | instskip(NEXT) | instid1(VALU_DEP_2)
	v_cmp_lt_u16_e64 s3, v13, v12
	v_dual_cndmask_b32 v17, v16, v15, s1 :: v_dual_cndmask_b32 v16, v14, v18, s1
                                        ; implicit-def: $vgpr14
	s_delay_alu instid0(VALU_DEP_1) | instskip(NEXT) | instid1(VALU_DEP_2)
	v_cmp_ge_i32_e64 s2, v17, v3
	v_cmp_lt_i32_e64 s4, v16, v0
	s_or_b32 s2, s2, s3
	s_delay_alu instid0(SALU_CYCLE_1) | instskip(NEXT) | instid1(SALU_CYCLE_1)
	s_and_b32 s2, s4, s2
	s_xor_b32 s3, s2, -1
	s_delay_alu instid0(SALU_CYCLE_1) | instskip(NEXT) | instid1(SALU_CYCLE_1)
	s_and_saveexec_b32 s4, s3
	s_xor_b32 s3, exec_lo, s4
; %bb.185:
	v_lshlrev_b32_e32 v14, 1, v17
	ds_load_u16 v14, v14 offset:2
; %bb.186:
	s_or_saveexec_b32 s3, s3
	v_mov_b32_e32 v15, v13
	s_xor_b32 exec_lo, exec_lo, s3
	s_cbranch_execz .LBB2_188
; %bb.187:
	s_wait_dscnt 0x0
	v_lshlrev_b32_e32 v14, 1, v16
	ds_load_u16 v15, v14 offset:2
	v_mov_b32_e32 v14, v12
.LBB2_188:
	s_or_b32 exec_lo, exec_lo, s3
	v_dual_add_nc_u32 v18, 1, v17 :: v_dual_add_nc_u32 v20, 1, v16
	s_wait_dscnt 0x0
	s_delay_alu instid0(VALU_DEP_2) | instskip(NEXT) | instid1(VALU_DEP_2)
	v_cmp_lt_u16_e64 s4, v15, v14
	v_dual_cndmask_b32 v19, v18, v17, s2 :: v_dual_cndmask_b32 v18, v16, v20, s2
                                        ; implicit-def: $vgpr16
	s_delay_alu instid0(VALU_DEP_1) | instskip(NEXT) | instid1(VALU_DEP_2)
	v_cmp_ge_i32_e64 s3, v19, v3
	v_cmp_lt_i32_e64 s5, v18, v0
	s_or_b32 s3, s3, s4
	s_delay_alu instid0(SALU_CYCLE_1) | instskip(NEXT) | instid1(SALU_CYCLE_1)
	s_and_b32 s3, s5, s3
	s_xor_b32 s4, s3, -1
	s_delay_alu instid0(SALU_CYCLE_1) | instskip(NEXT) | instid1(SALU_CYCLE_1)
	s_and_saveexec_b32 s5, s4
	s_xor_b32 s4, exec_lo, s5
; %bb.189:
	v_lshlrev_b32_e32 v16, 1, v19
	ds_load_u16 v16, v16 offset:2
; %bb.190:
	s_or_saveexec_b32 s4, s4
	v_mov_b32_e32 v17, v15
	s_xor_b32 exec_lo, exec_lo, s4
	s_cbranch_execz .LBB2_192
; %bb.191:
	s_wait_dscnt 0x0
	v_lshlrev_b32_e32 v16, 1, v18
	ds_load_u16 v17, v16 offset:2
	v_mov_b32_e32 v16, v14
.LBB2_192:
	s_or_b32 exec_lo, exec_lo, s4
	v_dual_add_nc_u32 v20, 1, v19 :: v_dual_add_nc_u32 v21, 1, v18
	s_wait_dscnt 0x0
	s_delay_alu instid0(VALU_DEP_2) | instskip(NEXT) | instid1(VALU_DEP_2)
	v_cmp_lt_u16_e64 s5, v17, v16
	v_dual_cndmask_b32 v20, v20, v19, s3 :: v_dual_cndmask_b32 v19, v18, v21, s3
                                        ; implicit-def: $vgpr18
	s_delay_alu instid0(VALU_DEP_1) | instskip(NEXT) | instid1(VALU_DEP_2)
	v_cmp_ge_i32_e64 s4, v20, v3
	v_cmp_lt_i32_e64 s6, v19, v0
	s_or_b32 s4, s4, s5
	s_delay_alu instid0(SALU_CYCLE_1) | instskip(NEXT) | instid1(SALU_CYCLE_1)
	s_and_b32 s4, s6, s4
	s_xor_b32 s5, s4, -1
	s_delay_alu instid0(SALU_CYCLE_1) | instskip(NEXT) | instid1(SALU_CYCLE_1)
	s_and_saveexec_b32 s6, s5
	s_xor_b32 s5, exec_lo, s6
; %bb.193:
	v_lshlrev_b32_e32 v18, 1, v20
	ds_load_u16 v18, v18 offset:2
; %bb.194:
	s_or_saveexec_b32 s5, s5
	v_mov_b32_e32 v21, v17
	s_xor_b32 exec_lo, exec_lo, s5
	s_cbranch_execz .LBB2_196
; %bb.195:
	s_wait_dscnt 0x0
	v_lshlrev_b32_e32 v18, 1, v19
	ds_load_u16 v21, v18 offset:2
	v_mov_b32_e32 v18, v16
.LBB2_196:
	s_or_b32 exec_lo, exec_lo, s5
	v_dual_add_nc_u32 v22, 1, v20 :: v_dual_add_nc_u32 v23, 1, v19
	v_dual_cndmask_b32 v16, v16, v17, s4 :: v_dual_cndmask_b32 v14, v14, v15, s3
	v_cndmask_b32_e64 v11, v10, v11, s1
	s_delay_alu instid0(VALU_DEP_3) | instskip(NEXT) | instid1(VALU_DEP_4)
	v_dual_cndmask_b32 v15, v22, v20, s4 :: v_dual_cndmask_b32 v12, v12, v13, s2
	v_cndmask_b32_e64 v13, v19, v23, s4
	s_wait_dscnt 0x0
	v_cmp_lt_u16_e64 s1, v21, v18
	v_perm_b32 v10, v16, v14, 0x5040100
	v_cmp_ge_i32_e64 s2, v15, v3
	v_cndmask_b32_e64 v3, v8, v9, s0
	v_cmp_lt_i32_e64 s0, v13, v0
	v_cndmask_b32_e32 v0, v6, v7, vcc_lo
	v_perm_b32 v9, v12, v11, 0x5040100
	s_or_b32 s1, s2, s1
	v_subrev_nc_u32_e64 v6, 0x380, v1 clamp
	s_and_b32 vcc_lo, s0, s1
	v_perm_b32 v8, v3, v0, 0x5040100
	v_min_i32_e32 v0, 0x380, v1
	v_cndmask_b32_e32 v7, v18, v21, vcc_lo
	s_mov_b32 s0, exec_lo
	s_barrier_signal -1
	s_barrier_wait -1
	ds_store_b96 v2, v[8:10]
	ds_store_b16 v2, v7 offset:12
	s_wait_dscnt 0x0
	s_barrier_signal -1
	s_barrier_wait -1
	v_cmpx_lt_i32_e64 v6, v0
	s_cbranch_execz .LBB2_200
; %bb.197:
	s_mov_b32 s1, 0
.LBB2_198:                              ; =>This Inner Loop Header: Depth=1
	v_sub_nc_u32_e32 v3, v0, v6
	s_delay_alu instid0(VALU_DEP_1) | instskip(NEXT) | instid1(VALU_DEP_1)
	v_lshrrev_b32_e32 v3, 1, v3
	v_add_nc_u32_e32 v3, v3, v6
	s_delay_alu instid0(VALU_DEP_1) | instskip(SKIP_1) | instid1(VALU_DEP_2)
	v_not_b32_e32 v7, v3
	v_dual_lshlrev_b32 v8, 1, v3 :: v_dual_add_nc_u32 v9, 1, v3
	v_lshl_add_u32 v7, v7, 1, v2
	ds_load_u16 v8, v8
	ds_load_u16 v7, v7 offset:1792
	s_wait_dscnt 0x0
	v_cmp_lt_u16_e32 vcc_lo, v7, v8
	v_dual_cndmask_b32 v0, v0, v3, vcc_lo :: v_dual_cndmask_b32 v6, v9, v6, vcc_lo
	s_delay_alu instid0(VALU_DEP_1) | instskip(SKIP_1) | instid1(SALU_CYCLE_1)
	v_cmp_ge_i32_e32 vcc_lo, v6, v0
	s_or_b32 s1, vcc_lo, s1
	s_and_not1_b32 exec_lo, exec_lo, s1
	s_cbranch_execnz .LBB2_198
; %bb.199:
	s_or_b32 exec_lo, exec_lo, s1
.LBB2_200:
	s_delay_alu instid0(SALU_CYCLE_1) | instskip(SKIP_3) | instid1(VALU_DEP_2)
	s_or_b32 exec_lo, exec_lo, s0
	v_dual_sub_nc_u32 v0, v1, v6 :: v_dual_lshlrev_b32 v3, 1, v6
	v_add_nc_u32_e32 v1, 0x380, v1
	v_cmp_le_i32_e32 vcc_lo, 0x380, v6
	v_dual_lshlrev_b32 v8, 1, v0 :: v_dual_sub_nc_u32 v7, v1, v6
                                        ; implicit-def: $vgpr1
	ds_load_u16 v0, v3
	ds_load_u16 v2, v8 offset:1792
	v_cmp_gt_i32_e64 s1, 0x700, v7
	s_wait_dscnt 0x0
	v_cmp_lt_u16_e64 s0, v2, v0
	s_or_b32 s0, vcc_lo, s0
	s_delay_alu instid0(SALU_CYCLE_1) | instskip(NEXT) | instid1(SALU_CYCLE_1)
	s_and_b32 vcc_lo, s1, s0
	s_xor_b32 s0, vcc_lo, -1
	s_delay_alu instid0(SALU_CYCLE_1) | instskip(NEXT) | instid1(SALU_CYCLE_1)
	s_and_saveexec_b32 s1, s0
	s_xor_b32 s0, exec_lo, s1
; %bb.201:
	ds_load_u16 v1, v3 offset:2
                                        ; implicit-def: $vgpr8
; %bb.202:
	s_or_saveexec_b32 s0, s0
	v_mov_b32_e32 v3, v2
	s_xor_b32 exec_lo, exec_lo, s0
	s_cbranch_execz .LBB2_204
; %bb.203:
	ds_load_u16 v3, v8 offset:1794
	s_wait_dscnt 0x1
	v_mov_b32_e32 v1, v0
.LBB2_204:
	s_or_b32 exec_lo, exec_lo, s0
	v_dual_add_nc_u32 v8, 1, v6 :: v_dual_add_nc_u32 v10, 1, v7
	s_wait_dscnt 0x0
	s_delay_alu instid0(VALU_DEP_2) | instskip(NEXT) | instid1(VALU_DEP_2)
	v_cmp_lt_u16_e64 s1, v3, v1
	v_cndmask_b32_e32 v9, v8, v6, vcc_lo
	s_delay_alu instid0(VALU_DEP_3) | instskip(NEXT) | instid1(VALU_DEP_2)
	v_cndmask_b32_e32 v8, v7, v10, vcc_lo
                                        ; implicit-def: $vgpr6
	v_cmp_le_i32_e64 s0, 0x380, v9
	s_delay_alu instid0(VALU_DEP_2) | instskip(SKIP_1) | instid1(SALU_CYCLE_1)
	v_cmp_gt_i32_e64 s2, 0x700, v8
	s_or_b32 s0, s0, s1
	s_and_b32 s0, s2, s0
	s_delay_alu instid0(SALU_CYCLE_1) | instskip(NEXT) | instid1(SALU_CYCLE_1)
	s_xor_b32 s1, s0, -1
	s_and_saveexec_b32 s2, s1
	s_delay_alu instid0(SALU_CYCLE_1)
	s_xor_b32 s1, exec_lo, s2
; %bb.205:
	v_lshlrev_b32_e32 v6, 1, v9
	ds_load_u16 v6, v6 offset:2
; %bb.206:
	s_or_saveexec_b32 s1, s1
	v_mov_b32_e32 v7, v3
	s_xor_b32 exec_lo, exec_lo, s1
	s_cbranch_execz .LBB2_208
; %bb.207:
	s_wait_dscnt 0x0
	v_lshlrev_b32_e32 v6, 1, v8
	ds_load_u16 v7, v6 offset:2
	v_mov_b32_e32 v6, v1
.LBB2_208:
	s_or_b32 exec_lo, exec_lo, s1
	v_dual_add_nc_u32 v10, 1, v9 :: v_dual_add_nc_u32 v12, 1, v8
	s_wait_dscnt 0x0
	s_delay_alu instid0(VALU_DEP_2) | instskip(NEXT) | instid1(VALU_DEP_2)
	v_cmp_lt_u16_e64 s2, v7, v6
	v_dual_cndmask_b32 v11, v10, v9, s0 :: v_dual_cndmask_b32 v10, v8, v12, s0
                                        ; implicit-def: $vgpr8
	s_delay_alu instid0(VALU_DEP_1) | instskip(NEXT) | instid1(VALU_DEP_2)
	v_cmp_le_i32_e64 s1, 0x380, v11
	v_cmp_gt_i32_e64 s3, 0x700, v10
	s_or_b32 s1, s1, s2
	s_delay_alu instid0(SALU_CYCLE_1) | instskip(NEXT) | instid1(SALU_CYCLE_1)
	s_and_b32 s1, s3, s1
	s_xor_b32 s2, s1, -1
	s_delay_alu instid0(SALU_CYCLE_1) | instskip(NEXT) | instid1(SALU_CYCLE_1)
	s_and_saveexec_b32 s3, s2
	s_xor_b32 s2, exec_lo, s3
; %bb.209:
	v_lshlrev_b32_e32 v8, 1, v11
	ds_load_u16 v8, v8 offset:2
; %bb.210:
	s_or_saveexec_b32 s2, s2
	v_mov_b32_e32 v9, v7
	s_xor_b32 exec_lo, exec_lo, s2
	s_cbranch_execz .LBB2_212
; %bb.211:
	s_wait_dscnt 0x0
	v_lshlrev_b32_e32 v8, 1, v10
	ds_load_u16 v9, v8 offset:2
	v_mov_b32_e32 v8, v6
.LBB2_212:
	s_or_b32 exec_lo, exec_lo, s2
	v_dual_add_nc_u32 v12, 1, v11 :: v_dual_add_nc_u32 v14, 1, v10
	s_wait_dscnt 0x0
	s_delay_alu instid0(VALU_DEP_2) | instskip(NEXT) | instid1(VALU_DEP_2)
	v_cmp_lt_u16_e64 s3, v9, v8
	v_dual_cndmask_b32 v13, v12, v11, s1 :: v_dual_cndmask_b32 v12, v10, v14, s1
                                        ; implicit-def: $vgpr10
	s_delay_alu instid0(VALU_DEP_1) | instskip(NEXT) | instid1(VALU_DEP_2)
	v_cmp_le_i32_e64 s2, 0x380, v13
	v_cmp_gt_i32_e64 s4, 0x700, v12
	s_or_b32 s2, s2, s3
	s_delay_alu instid0(SALU_CYCLE_1) | instskip(NEXT) | instid1(SALU_CYCLE_1)
	s_and_b32 s2, s4, s2
	s_xor_b32 s3, s2, -1
	s_delay_alu instid0(SALU_CYCLE_1) | instskip(NEXT) | instid1(SALU_CYCLE_1)
	s_and_saveexec_b32 s4, s3
	s_xor_b32 s3, exec_lo, s4
; %bb.213:
	v_lshlrev_b32_e32 v10, 1, v13
	ds_load_u16 v10, v10 offset:2
; %bb.214:
	s_or_saveexec_b32 s3, s3
	v_mov_b32_e32 v11, v9
	s_xor_b32 exec_lo, exec_lo, s3
	s_cbranch_execz .LBB2_216
; %bb.215:
	s_wait_dscnt 0x0
	v_lshlrev_b32_e32 v10, 1, v12
	ds_load_u16 v11, v10 offset:2
	v_mov_b32_e32 v10, v8
.LBB2_216:
	s_or_b32 exec_lo, exec_lo, s3
	v_dual_add_nc_u32 v14, 1, v13 :: v_dual_add_nc_u32 v16, 1, v12
	s_wait_dscnt 0x0
	s_delay_alu instid0(VALU_DEP_2) | instskip(NEXT) | instid1(VALU_DEP_2)
	v_cmp_lt_u16_e64 s4, v11, v10
	v_dual_cndmask_b32 v15, v14, v13, s2 :: v_dual_cndmask_b32 v14, v12, v16, s2
                                        ; implicit-def: $vgpr13
	s_delay_alu instid0(VALU_DEP_1) | instskip(NEXT) | instid1(VALU_DEP_2)
	v_cmp_le_i32_e64 s3, 0x380, v15
	v_cmp_gt_i32_e64 s5, 0x700, v14
	s_or_b32 s3, s3, s4
	s_delay_alu instid0(SALU_CYCLE_1) | instskip(NEXT) | instid1(SALU_CYCLE_1)
	s_and_b32 s3, s5, s3
	s_xor_b32 s4, s3, -1
	s_delay_alu instid0(SALU_CYCLE_1) | instskip(NEXT) | instid1(SALU_CYCLE_1)
	s_and_saveexec_b32 s5, s4
	s_xor_b32 s4, exec_lo, s5
; %bb.217:
	v_lshlrev_b32_e32 v12, 1, v15
	ds_load_u16 v13, v12 offset:2
; %bb.218:
	s_or_saveexec_b32 s4, s4
	v_mov_b32_e32 v12, v11
	s_xor_b32 exec_lo, exec_lo, s4
	s_cbranch_execz .LBB2_220
; %bb.219:
	s_wait_dscnt 0x0
	v_dual_mov_b32 v13, v10 :: v_dual_lshlrev_b32 v12, 1, v14
	ds_load_u16 v12, v12 offset:2
.LBB2_220:
	s_or_b32 exec_lo, exec_lo, s4
	v_dual_add_nc_u32 v16, 1, v15 :: v_dual_add_nc_u32 v18, 1, v14
	s_wait_dscnt 0x0
	v_cmp_ge_u16_e64 s5, v12, v13
	s_delay_alu instid0(VALU_DEP_2) | instskip(NEXT) | instid1(VALU_DEP_1)
	v_dual_cndmask_b32 v17, v16, v15, s3 :: v_dual_cndmask_b32 v14, v14, v18, s3
                                        ; implicit-def: $vgpr15
                                        ; implicit-def: $vgpr16
	v_cmp_gt_i32_e64 s4, 0x380, v17
	s_delay_alu instid0(VALU_DEP_2) | instskip(SKIP_1) | instid1(SALU_CYCLE_1)
	v_cmp_lt_i32_e64 s6, 0x6ff, v14
	s_and_b32 s4, s4, s5
	s_or_b32 s4, s6, s4
	s_delay_alu instid0(SALU_CYCLE_1) | instskip(NEXT) | instid1(SALU_CYCLE_1)
	s_and_saveexec_b32 s5, s4
	s_xor_b32 s4, exec_lo, s5
; %bb.221:
	v_dual_lshlrev_b32 v15, 1, v17 :: v_dual_add_nc_u32 v16, 1, v17
                                        ; implicit-def: $vgpr17
	ds_load_u16 v15, v15 offset:2
; %bb.222:
	s_or_saveexec_b32 s4, s4
	v_mov_b32_e32 v18, v13
	s_xor_b32 exec_lo, exec_lo, s4
	s_cbranch_execz .LBB2_224
; %bb.223:
	s_wait_dscnt 0x0
	v_dual_lshlrev_b32 v15, 1, v14 :: v_dual_add_nc_u32 v14, 1, v14
	v_dual_mov_b32 v18, v12 :: v_dual_mov_b32 v16, v17
	ds_load_u16 v19, v15 offset:2
	s_wait_dscnt 0x0
	v_dual_mov_b32 v15, v13 :: v_dual_mov_b32 v12, v19
.LBB2_224:
	s_or_b32 exec_lo, exec_lo, s4
	v_dual_cndmask_b32 v8, v8, v9, s2 :: v_dual_cndmask_b32 v6, v6, v7, s1
	v_cmp_le_i32_e64 s1, 0x380, v16
	s_wait_dscnt 0x0
	v_cmp_lt_u16_e64 s2, v12, v15
	v_dual_cndmask_b32 v3, v1, v3, s0 :: v_dual_cndmask_b32 v0, v0, v2, vcc_lo
	v_cmp_gt_i32_e32 vcc_lo, 0x700, v14
	v_perm_b32 v1, v8, v6, 0x5040100
	s_or_b32 s0, s1, s2
	s_delay_alu instid0(VALU_DEP_3) | instskip(SKIP_1) | instid1(SALU_CYCLE_1)
	v_perm_b32 v0, v3, v0, 0x5040100
	s_and_b32 vcc_lo, vcc_lo, s0
	v_dual_cndmask_b32 v2, v10, v11, s3 :: v_dual_cndmask_b32 v3, v15, v12, vcc_lo
	s_delay_alu instid0(VALU_DEP_1)
	v_perm_b32 v2, v18, v2, 0x5040100
	s_clause 0x1
	global_store_b96 v[4:5], v[0:2], off
	global_store_b16 v[4:5], v3, off offset:12
	s_endpgm
	.section	.rodata,"a",@progbits
	.p2align	6, 0x0
	.amdhsa_kernel _Z15sort_key_kernelILj256ELj7EtN10test_utils4lessEEvPT1_T2_
		.amdhsa_group_segment_fixed_size 3586
		.amdhsa_private_segment_fixed_size 0
		.amdhsa_kernarg_size 12
		.amdhsa_user_sgpr_count 2
		.amdhsa_user_sgpr_dispatch_ptr 0
		.amdhsa_user_sgpr_queue_ptr 0
		.amdhsa_user_sgpr_kernarg_segment_ptr 1
		.amdhsa_user_sgpr_dispatch_id 0
		.amdhsa_user_sgpr_kernarg_preload_length 0
		.amdhsa_user_sgpr_kernarg_preload_offset 0
		.amdhsa_user_sgpr_private_segment_size 0
		.amdhsa_wavefront_size32 1
		.amdhsa_uses_dynamic_stack 0
		.amdhsa_enable_private_segment 0
		.amdhsa_system_sgpr_workgroup_id_x 1
		.amdhsa_system_sgpr_workgroup_id_y 0
		.amdhsa_system_sgpr_workgroup_id_z 0
		.amdhsa_system_sgpr_workgroup_info 0
		.amdhsa_system_vgpr_workitem_id 0
		.amdhsa_next_free_vgpr 36
		.amdhsa_next_free_sgpr 7
		.amdhsa_named_barrier_count 0
		.amdhsa_reserve_vcc 1
		.amdhsa_float_round_mode_32 0
		.amdhsa_float_round_mode_16_64 0
		.amdhsa_float_denorm_mode_32 3
		.amdhsa_float_denorm_mode_16_64 3
		.amdhsa_fp16_overflow 0
		.amdhsa_memory_ordered 1
		.amdhsa_forward_progress 1
		.amdhsa_inst_pref_size 89
		.amdhsa_round_robin_scheduling 0
		.amdhsa_exception_fp_ieee_invalid_op 0
		.amdhsa_exception_fp_denorm_src 0
		.amdhsa_exception_fp_ieee_div_zero 0
		.amdhsa_exception_fp_ieee_overflow 0
		.amdhsa_exception_fp_ieee_underflow 0
		.amdhsa_exception_fp_ieee_inexact 0
		.amdhsa_exception_int_div_zero 0
	.end_amdhsa_kernel
	.section	.text._Z15sort_key_kernelILj256ELj7EtN10test_utils4lessEEvPT1_T2_,"axG",@progbits,_Z15sort_key_kernelILj256ELj7EtN10test_utils4lessEEvPT1_T2_,comdat
.Lfunc_end2:
	.size	_Z15sort_key_kernelILj256ELj7EtN10test_utils4lessEEvPT1_T2_, .Lfunc_end2-_Z15sort_key_kernelILj256ELj7EtN10test_utils4lessEEvPT1_T2_
                                        ; -- End function
	.set _Z15sort_key_kernelILj256ELj7EtN10test_utils4lessEEvPT1_T2_.num_vgpr, 36
	.set _Z15sort_key_kernelILj256ELj7EtN10test_utils4lessEEvPT1_T2_.num_agpr, 0
	.set _Z15sort_key_kernelILj256ELj7EtN10test_utils4lessEEvPT1_T2_.numbered_sgpr, 7
	.set _Z15sort_key_kernelILj256ELj7EtN10test_utils4lessEEvPT1_T2_.num_named_barrier, 0
	.set _Z15sort_key_kernelILj256ELj7EtN10test_utils4lessEEvPT1_T2_.private_seg_size, 0
	.set _Z15sort_key_kernelILj256ELj7EtN10test_utils4lessEEvPT1_T2_.uses_vcc, 1
	.set _Z15sort_key_kernelILj256ELj7EtN10test_utils4lessEEvPT1_T2_.uses_flat_scratch, 0
	.set _Z15sort_key_kernelILj256ELj7EtN10test_utils4lessEEvPT1_T2_.has_dyn_sized_stack, 0
	.set _Z15sort_key_kernelILj256ELj7EtN10test_utils4lessEEvPT1_T2_.has_recursion, 0
	.set _Z15sort_key_kernelILj256ELj7EtN10test_utils4lessEEvPT1_T2_.has_indirect_call, 0
	.section	.AMDGPU.csdata,"",@progbits
; Kernel info:
; codeLenInByte = 11344
; TotalNumSgprs: 9
; NumVgprs: 36
; ScratchSize: 0
; MemoryBound: 0
; FloatMode: 240
; IeeeMode: 1
; LDSByteSize: 3586 bytes/workgroup (compile time only)
; SGPRBlocks: 0
; VGPRBlocks: 2
; NumSGPRsForWavesPerEU: 9
; NumVGPRsForWavesPerEU: 36
; NamedBarCnt: 0
; Occupancy: 16
; WaveLimiterHint : 0
; COMPUTE_PGM_RSRC2:SCRATCH_EN: 0
; COMPUTE_PGM_RSRC2:USER_SGPR: 2
; COMPUTE_PGM_RSRC2:TRAP_HANDLER: 0
; COMPUTE_PGM_RSRC2:TGID_X_EN: 1
; COMPUTE_PGM_RSRC2:TGID_Y_EN: 0
; COMPUTE_PGM_RSRC2:TGID_Z_EN: 0
; COMPUTE_PGM_RSRC2:TIDIG_COMP_CNT: 0
	.section	.text._Z15sort_key_kernelILj128ELj4EiN10test_utils4lessEEvPT1_T2_,"axG",@progbits,_Z15sort_key_kernelILj128ELj4EiN10test_utils4lessEEvPT1_T2_,comdat
	.protected	_Z15sort_key_kernelILj128ELj4EiN10test_utils4lessEEvPT1_T2_ ; -- Begin function _Z15sort_key_kernelILj128ELj4EiN10test_utils4lessEEvPT1_T2_
	.globl	_Z15sort_key_kernelILj128ELj4EiN10test_utils4lessEEvPT1_T2_
	.p2align	8
	.type	_Z15sort_key_kernelILj128ELj4EiN10test_utils4lessEEvPT1_T2_,@function
_Z15sort_key_kernelILj128ELj4EiN10test_utils4lessEEvPT1_T2_: ; @_Z15sort_key_kernelILj128ELj4EiN10test_utils4lessEEvPT1_T2_
; %bb.0:
	s_load_b64 s[0:1], s[0:1], 0x0
	s_bfe_u32 s2, ttmp6, 0x4000c
	s_and_b32 s3, ttmp6, 15
	s_add_co_i32 s2, s2, 1
	s_getreg_b32 s4, hwreg(HW_REG_IB_STS2, 6, 4)
	s_mul_i32 s2, ttmp9, s2
	s_mov_b32 s5, 0
	s_add_co_i32 s3, s3, s2
	s_cmp_eq_u32 s4, 0
	v_dual_mov_b32 v1, 0 :: v_dual_lshlrev_b32 v2, 2, v0
	s_cselect_b32 s2, ttmp9, s3
	s_delay_alu instid0(SALU_CYCLE_1) | instskip(NEXT) | instid1(VALU_DEP_1)
	s_lshl_b32 s4, s2, 9
	v_and_b32_e32 v9, 0x1f8, v2
	s_lshl_b64 s[2:3], s[4:5], 2
	v_and_b32_e32 v7, 4, v2
	s_delay_alu instid0(VALU_DEP_2)
	v_dual_add_nc_u32 v3, 8, v9 :: v_dual_bitop2_b32 v6, 4, v9 bitop3:0x54
	s_wait_kmcnt 0x0
	s_add_nc_u64 s[2:3], s[0:1], s[2:3]
	v_lshlrev_b32_e32 v8, 2, v9
	global_load_b128 v[10:13], v0, s[2:3] scale_offset
	s_wait_xcnt 0x0
	v_dual_lshlrev_b32 v0, 4, v0 :: v_dual_sub_nc_u32 v4, v6, v9
	s_wait_loadcnt 0x0
	s_barrier_signal -1
	s_barrier_wait -1
	s_delay_alu instid0(VALU_DEP_1)
	v_min_i32_e32 v4, v7, v4
	v_cmp_lt_i32_e32 vcc_lo, v11, v10
	v_max_i32_e32 v16, v11, v10
	v_cmp_lt_i32_e64 s0, v13, v12
	v_dual_sub_nc_u32 v5, v3, v6 :: v_dual_min_i32 v17, v13, v12
	v_dual_cndmask_b32 v14, v10, v11 :: v_dual_min_i32 v15, v11, v10
	s_delay_alu instid0(VALU_DEP_3) | instskip(SKIP_1) | instid1(VALU_DEP_4)
	v_dual_cndmask_b32 v18, v13, v12, s0 :: v_dual_cndmask_b32 v10, v11, v10, vcc_lo
	v_cndmask_b32_e64 v11, v12, v13, s0
	v_cmp_lt_i32_e32 vcc_lo, v17, v16
	v_max_i32_e32 v19, v13, v12
	v_max_i32_e32 v12, v17, v16
	v_cmp_lt_i32_e64 s0, v17, v15
	v_dual_cndmask_b32 v11, v11, v16 :: v_dual_cndmask_b32 v10, v10, v17
	s_delay_alu instid0(VALU_DEP_4) | instskip(SKIP_1) | instid1(VALU_DEP_2)
	v_cmp_gt_i32_e64 s1, v16, v19
	v_dual_sub_nc_u32 v17, v7, v5 :: v_dual_min_i32 v13, v17, v16
	v_dual_cndmask_b32 v16, v18, v12, s1 :: v_dual_cndmask_b32 v12, v12, v19, s1
	s_delay_alu instid0(VALU_DEP_2) | instskip(SKIP_3) | instid1(VALU_DEP_4)
	v_dual_cndmask_b32 v14, v14, v13, s0 :: v_dual_cndmask_b32 v13, v13, v15, s0
	v_cndmask_b32_e64 v15, v10, v15, s0
	v_cmp_ge_i32_e64 s0, v7, v5
	v_cndmask_b32_e64 v11, v11, v19, s1
	v_cmp_lt_i32_e32 vcc_lo, v12, v13
	s_delay_alu instid0(VALU_DEP_3) | instskip(SKIP_1) | instid1(VALU_DEP_3)
	v_cndmask_b32_e64 v10, 0, v17, s0
	s_mov_b32 s0, exec_lo
	v_cndmask_b32_e32 v5, v11, v13, vcc_lo
	v_cndmask_b32_e32 v11, v15, v12, vcc_lo
	ds_store_2addr_b32 v0, v14, v11 offset1:1
	ds_store_2addr_b32 v0, v5, v16 offset0:2 offset1:3
	s_wait_dscnt 0x0
	s_barrier_signal -1
	s_barrier_wait -1
	v_cmpx_lt_i32_e64 v10, v4
	s_cbranch_execz .LBB3_4
; %bb.1:
	v_lshlrev_b32_e32 v5, 2, v7
	s_delay_alu instid0(VALU_DEP_1)
	v_lshl_add_u32 v5, v6, 2, v5
.LBB3_2:                                ; =>This Inner Loop Header: Depth=1
	v_sub_nc_u32_e32 v11, v4, v10
	s_delay_alu instid0(VALU_DEP_1) | instskip(NEXT) | instid1(VALU_DEP_1)
	v_lshrrev_b32_e32 v11, 1, v11
	v_add_nc_u32_e32 v11, v11, v10
	s_delay_alu instid0(VALU_DEP_1) | instskip(SKIP_1) | instid1(VALU_DEP_2)
	v_not_b32_e32 v12, v11
	v_lshl_add_u32 v13, v11, 2, v8
	v_lshl_add_u32 v12, v12, 2, v5
	ds_load_b32 v13, v13
	ds_load_b32 v12, v12
	s_wait_dscnt 0x0
	v_cmp_lt_i32_e32 vcc_lo, v12, v13
	v_dual_add_nc_u32 v14, 1, v11 :: v_dual_cndmask_b32 v4, v4, v11, vcc_lo
	s_delay_alu instid0(VALU_DEP_1) | instskip(NEXT) | instid1(VALU_DEP_1)
	v_cndmask_b32_e32 v10, v14, v10, vcc_lo
	v_cmp_ge_i32_e32 vcc_lo, v10, v4
	s_or_b32 s5, vcc_lo, s5
	s_delay_alu instid0(SALU_CYCLE_1)
	s_and_not1_b32 exec_lo, exec_lo, s5
	s_cbranch_execnz .LBB3_2
; %bb.3:
	s_or_b32 exec_lo, exec_lo, s5
.LBB3_4:
	s_delay_alu instid0(SALU_CYCLE_1) | instskip(SKIP_3) | instid1(VALU_DEP_2)
	s_or_b32 exec_lo, exec_lo, s0
	v_add_nc_u64_e32 v[4:5], s[2:3], v[0:1]
	v_add_nc_u32_e32 v1, v6, v7
	v_lshl_add_u32 v13, v10, 2, v8
	v_dual_sub_nc_u32 v11, v1, v10 :: v_dual_add_nc_u32 v10, v10, v9
                                        ; implicit-def: $vgpr1
	s_delay_alu instid0(VALU_DEP_1) | instskip(NEXT) | instid1(VALU_DEP_2)
	v_lshlrev_b32_e32 v12, 2, v11
	v_cmp_le_i32_e32 vcc_lo, v6, v10
	v_cmp_gt_i32_e64 s1, v3, v11
	ds_load_b32 v7, v13
	ds_load_b32 v8, v12
	s_wait_dscnt 0x0
	v_cmp_lt_i32_e64 s0, v8, v7
	s_or_b32 s0, vcc_lo, s0
	s_delay_alu instid0(SALU_CYCLE_1) | instskip(NEXT) | instid1(SALU_CYCLE_1)
	s_and_b32 vcc_lo, s1, s0
	s_xor_b32 s0, vcc_lo, -1
	s_delay_alu instid0(SALU_CYCLE_1) | instskip(NEXT) | instid1(SALU_CYCLE_1)
	s_and_saveexec_b32 s1, s0
	s_xor_b32 s0, exec_lo, s1
; %bb.5:
	ds_load_b32 v1, v13 offset:4
                                        ; implicit-def: $vgpr12
; %bb.6:
	s_or_saveexec_b32 s0, s0
	v_mov_b32_e32 v9, v8
	s_xor_b32 exec_lo, exec_lo, s0
	s_cbranch_execz .LBB3_8
; %bb.7:
	ds_load_b32 v9, v12 offset:4
	s_wait_dscnt 0x1
	v_mov_b32_e32 v1, v7
.LBB3_8:
	s_or_b32 exec_lo, exec_lo, s0
	v_dual_add_nc_u32 v12, 1, v10 :: v_dual_add_nc_u32 v13, 1, v11
	s_wait_dscnt 0x0
	s_delay_alu instid0(VALU_DEP_2) | instskip(NEXT) | instid1(VALU_DEP_2)
	v_cmp_lt_i32_e64 s1, v9, v1
	v_dual_cndmask_b32 v12, v12, v10 :: v_dual_cndmask_b32 v11, v11, v13
                                        ; implicit-def: $vgpr10
	s_delay_alu instid0(VALU_DEP_1) | instskip(NEXT) | instid1(VALU_DEP_2)
	v_cmp_ge_i32_e64 s0, v12, v6
	v_cmp_lt_i32_e64 s2, v11, v3
	s_or_b32 s0, s0, s1
	s_delay_alu instid0(SALU_CYCLE_1) | instskip(NEXT) | instid1(SALU_CYCLE_1)
	s_and_b32 s0, s2, s0
	s_xor_b32 s1, s0, -1
	s_delay_alu instid0(SALU_CYCLE_1) | instskip(NEXT) | instid1(SALU_CYCLE_1)
	s_and_saveexec_b32 s2, s1
	s_xor_b32 s1, exec_lo, s2
; %bb.9:
	v_lshlrev_b32_e32 v10, 2, v12
	ds_load_b32 v10, v10 offset:4
; %bb.10:
	s_or_saveexec_b32 s1, s1
	v_mov_b32_e32 v14, v9
	s_xor_b32 exec_lo, exec_lo, s1
	s_cbranch_execz .LBB3_12
; %bb.11:
	s_wait_dscnt 0x0
	v_lshlrev_b32_e32 v10, 2, v11
	ds_load_b32 v14, v10 offset:4
	v_mov_b32_e32 v10, v1
.LBB3_12:
	s_or_b32 exec_lo, exec_lo, s1
	v_dual_add_nc_u32 v13, 1, v12 :: v_dual_add_nc_u32 v15, 1, v11
	s_wait_dscnt 0x0
	s_delay_alu instid0(VALU_DEP_2) | instskip(NEXT) | instid1(VALU_DEP_2)
	v_cmp_lt_i32_e64 s2, v14, v10
	v_dual_cndmask_b32 v13, v13, v12, s0 :: v_dual_cndmask_b32 v11, v11, v15, s0
                                        ; implicit-def: $vgpr12
	s_delay_alu instid0(VALU_DEP_1) | instskip(NEXT) | instid1(VALU_DEP_2)
	v_cmp_ge_i32_e64 s1, v13, v6
	v_cmp_lt_i32_e64 s3, v11, v3
	s_or_b32 s1, s1, s2
	s_delay_alu instid0(SALU_CYCLE_1) | instskip(NEXT) | instid1(SALU_CYCLE_1)
	s_and_b32 s1, s3, s1
	s_xor_b32 s2, s1, -1
	s_delay_alu instid0(SALU_CYCLE_1) | instskip(NEXT) | instid1(SALU_CYCLE_1)
	s_and_saveexec_b32 s3, s2
	s_xor_b32 s2, exec_lo, s3
; %bb.13:
	v_lshlrev_b32_e32 v12, 2, v13
	ds_load_b32 v12, v12 offset:4
; %bb.14:
	s_or_saveexec_b32 s2, s2
	v_mov_b32_e32 v15, v14
	s_xor_b32 exec_lo, exec_lo, s2
	s_cbranch_execz .LBB3_16
; %bb.15:
	s_wait_dscnt 0x0
	v_lshlrev_b32_e32 v12, 2, v11
	ds_load_b32 v15, v12 offset:4
	v_mov_b32_e32 v12, v10
.LBB3_16:
	s_or_b32 exec_lo, exec_lo, s2
	v_dual_add_nc_u32 v16, 1, v13 :: v_dual_add_nc_u32 v17, 1, v11
	v_cndmask_b32_e64 v14, v10, v14, s1
	v_and_b32_e32 v10, 0x1f0, v2
	s_delay_alu instid0(VALU_DEP_3)
	v_dual_cndmask_b32 v7, v7, v8, vcc_lo :: v_dual_cndmask_b32 v13, v16, v13, s1
	v_cndmask_b32_e64 v16, v1, v9, s0
	v_cndmask_b32_e64 v9, v11, v17, s1
	s_wait_dscnt 0x0
	v_cmp_lt_i32_e64 s0, v15, v12
	v_or_b32_e32 v1, 8, v10
	v_cmp_ge_i32_e64 s1, v13, v6
	v_add_nc_u32_e32 v6, 16, v10
	v_cmp_lt_i32_e64 s2, v9, v3
	v_and_b32_e32 v3, 12, v2
	s_or_b32 s0, s1, s0
	s_barrier_signal -1
	s_and_b32 vcc_lo, s2, s0
	v_dual_cndmask_b32 v11, v12, v15 :: v_dual_sub_nc_u32 v8, v6, v1
	s_barrier_wait -1
	s_delay_alu instid0(VALU_DEP_1)
	v_dual_sub_nc_u32 v12, v1, v10 :: v_dual_sub_nc_u32 v9, v3, v8
	v_cmp_ge_i32_e32 vcc_lo, v3, v8
	ds_store_2addr_b32 v0, v7, v16 offset1:1
	ds_store_2addr_b32 v0, v14, v11 offset0:2 offset1:3
	v_dual_lshlrev_b32 v7, 2, v10 :: v_dual_min_i32 v8, v3, v12
	s_mov_b32 s1, 0
	v_cndmask_b32_e32 v9, 0, v9, vcc_lo
	s_mov_b32 s0, exec_lo
	s_wait_dscnt 0x0
	s_barrier_signal -1
	s_barrier_wait -1
	v_cmpx_lt_i32_e64 v9, v8
	s_cbranch_execz .LBB3_20
; %bb.17:
	v_lshlrev_b32_e32 v11, 2, v3
	s_delay_alu instid0(VALU_DEP_1)
	v_lshl_add_u32 v11, v1, 2, v11
.LBB3_18:                               ; =>This Inner Loop Header: Depth=1
	v_sub_nc_u32_e32 v12, v8, v9
	s_delay_alu instid0(VALU_DEP_1) | instskip(NEXT) | instid1(VALU_DEP_1)
	v_lshrrev_b32_e32 v12, 1, v12
	v_add_nc_u32_e32 v12, v12, v9
	s_delay_alu instid0(VALU_DEP_1) | instskip(SKIP_1) | instid1(VALU_DEP_2)
	v_not_b32_e32 v13, v12
	v_lshl_add_u32 v14, v12, 2, v7
	v_lshl_add_u32 v13, v13, 2, v11
	ds_load_b32 v14, v14
	ds_load_b32 v13, v13
	s_wait_dscnt 0x0
	v_cmp_lt_i32_e32 vcc_lo, v13, v14
	v_dual_cndmask_b32 v8, v8, v12 :: v_dual_add_nc_u32 v15, 1, v12
	s_delay_alu instid0(VALU_DEP_1) | instskip(NEXT) | instid1(VALU_DEP_1)
	v_cndmask_b32_e32 v9, v15, v9, vcc_lo
	v_cmp_ge_i32_e32 vcc_lo, v9, v8
	s_or_b32 s1, vcc_lo, s1
	s_delay_alu instid0(SALU_CYCLE_1)
	s_and_not1_b32 exec_lo, exec_lo, s1
	s_cbranch_execnz .LBB3_18
; %bb.19:
	s_or_b32 exec_lo, exec_lo, s1
.LBB3_20:
	s_delay_alu instid0(SALU_CYCLE_1) | instskip(SKIP_2) | instid1(VALU_DEP_2)
	s_or_b32 exec_lo, exec_lo, s0
	v_add_nc_u32_e32 v3, v1, v3
	v_lshl_add_u32 v13, v9, 2, v7
	v_dual_add_nc_u32 v10, v9, v10 :: v_dual_sub_nc_u32 v11, v3, v9
                                        ; implicit-def: $vgpr3
	s_delay_alu instid0(VALU_DEP_1) | instskip(NEXT) | instid1(VALU_DEP_2)
	v_cmp_le_i32_e32 vcc_lo, v1, v10
	v_lshlrev_b32_e32 v12, 2, v11
	v_cmp_gt_i32_e64 s1, v6, v11
	ds_load_b32 v7, v13
	ds_load_b32 v8, v12
	s_wait_dscnt 0x0
	v_cmp_lt_i32_e64 s0, v8, v7
	s_or_b32 s0, vcc_lo, s0
	s_delay_alu instid0(SALU_CYCLE_1) | instskip(NEXT) | instid1(SALU_CYCLE_1)
	s_and_b32 vcc_lo, s1, s0
	s_xor_b32 s0, vcc_lo, -1
	s_delay_alu instid0(SALU_CYCLE_1) | instskip(NEXT) | instid1(SALU_CYCLE_1)
	s_and_saveexec_b32 s1, s0
	s_xor_b32 s0, exec_lo, s1
; %bb.21:
	ds_load_b32 v3, v13 offset:4
                                        ; implicit-def: $vgpr12
; %bb.22:
	s_or_saveexec_b32 s0, s0
	v_mov_b32_e32 v9, v8
	s_xor_b32 exec_lo, exec_lo, s0
	s_cbranch_execz .LBB3_24
; %bb.23:
	ds_load_b32 v9, v12 offset:4
	s_wait_dscnt 0x1
	v_mov_b32_e32 v3, v7
.LBB3_24:
	s_or_b32 exec_lo, exec_lo, s0
	v_dual_add_nc_u32 v12, 1, v10 :: v_dual_add_nc_u32 v13, 1, v11
	s_wait_dscnt 0x0
	s_delay_alu instid0(VALU_DEP_2) | instskip(NEXT) | instid1(VALU_DEP_2)
	v_cmp_lt_i32_e64 s1, v9, v3
	v_dual_cndmask_b32 v12, v12, v10 :: v_dual_cndmask_b32 v11, v11, v13
                                        ; implicit-def: $vgpr10
	s_delay_alu instid0(VALU_DEP_1) | instskip(NEXT) | instid1(VALU_DEP_2)
	v_cmp_ge_i32_e64 s0, v12, v1
	v_cmp_lt_i32_e64 s2, v11, v6
	s_or_b32 s0, s0, s1
	s_delay_alu instid0(SALU_CYCLE_1) | instskip(NEXT) | instid1(SALU_CYCLE_1)
	s_and_b32 s0, s2, s0
	s_xor_b32 s1, s0, -1
	s_delay_alu instid0(SALU_CYCLE_1) | instskip(NEXT) | instid1(SALU_CYCLE_1)
	s_and_saveexec_b32 s2, s1
	s_xor_b32 s1, exec_lo, s2
; %bb.25:
	v_lshlrev_b32_e32 v10, 2, v12
	ds_load_b32 v10, v10 offset:4
; %bb.26:
	s_or_saveexec_b32 s1, s1
	v_mov_b32_e32 v14, v9
	s_xor_b32 exec_lo, exec_lo, s1
	s_cbranch_execz .LBB3_28
; %bb.27:
	s_wait_dscnt 0x0
	v_lshlrev_b32_e32 v10, 2, v11
	ds_load_b32 v14, v10 offset:4
	v_mov_b32_e32 v10, v3
.LBB3_28:
	s_or_b32 exec_lo, exec_lo, s1
	v_dual_add_nc_u32 v13, 1, v12 :: v_dual_add_nc_u32 v15, 1, v11
	s_wait_dscnt 0x0
	s_delay_alu instid0(VALU_DEP_2) | instskip(NEXT) | instid1(VALU_DEP_2)
	v_cmp_lt_i32_e64 s2, v14, v10
	v_dual_cndmask_b32 v13, v13, v12, s0 :: v_dual_cndmask_b32 v11, v11, v15, s0
                                        ; implicit-def: $vgpr12
	s_delay_alu instid0(VALU_DEP_1) | instskip(NEXT) | instid1(VALU_DEP_2)
	v_cmp_ge_i32_e64 s1, v13, v1
	v_cmp_lt_i32_e64 s3, v11, v6
	s_or_b32 s1, s1, s2
	s_delay_alu instid0(SALU_CYCLE_1) | instskip(NEXT) | instid1(SALU_CYCLE_1)
	s_and_b32 s1, s3, s1
	s_xor_b32 s2, s1, -1
	s_delay_alu instid0(SALU_CYCLE_1) | instskip(NEXT) | instid1(SALU_CYCLE_1)
	s_and_saveexec_b32 s3, s2
	s_xor_b32 s2, exec_lo, s3
; %bb.29:
	v_lshlrev_b32_e32 v12, 2, v13
	ds_load_b32 v12, v12 offset:4
; %bb.30:
	s_or_saveexec_b32 s2, s2
	v_mov_b32_e32 v15, v14
	s_xor_b32 exec_lo, exec_lo, s2
	s_cbranch_execz .LBB3_32
; %bb.31:
	s_wait_dscnt 0x0
	v_lshlrev_b32_e32 v12, 2, v11
	ds_load_b32 v15, v12 offset:4
	v_mov_b32_e32 v12, v10
.LBB3_32:
	s_or_b32 exec_lo, exec_lo, s2
	v_dual_add_nc_u32 v16, 1, v13 :: v_dual_add_nc_u32 v17, 1, v11
	v_cndmask_b32_e64 v14, v10, v14, s1
	v_and_b32_e32 v10, 0x1e0, v2
	s_delay_alu instid0(VALU_DEP_3) | instskip(SKIP_1) | instid1(VALU_DEP_3)
	v_dual_cndmask_b32 v7, v7, v8, vcc_lo :: v_dual_cndmask_b32 v13, v16, v13, s1
	v_cndmask_b32_e64 v16, v3, v9, s0
	v_dual_cndmask_b32 v9, v11, v17, s1 :: v_dual_bitop2_b32 v3, 16, v10 bitop3:0x54
	s_wait_dscnt 0x0
	v_cmp_lt_i32_e64 s0, v15, v12
	v_cmp_ge_i32_e64 s1, v13, v1
	v_add_nc_u32_e32 v1, 32, v10
	v_cmp_lt_i32_e64 s2, v9, v6
	v_and_b32_e32 v6, 28, v2
	s_or_b32 s0, s1, s0
	v_sub_nc_u32_e32 v8, v1, v3
	s_and_b32 vcc_lo, s2, s0
	s_barrier_signal -1
	v_dual_cndmask_b32 v11, v12, v15 :: v_dual_sub_nc_u32 v12, v3, v10
	s_delay_alu instid0(VALU_DEP_2) | instskip(SKIP_2) | instid1(VALU_DEP_3)
	v_sub_nc_u32_e32 v9, v6, v8
	v_cmp_ge_i32_e32 vcc_lo, v6, v8
	s_barrier_wait -1
	v_min_i32_e32 v8, v6, v12
	ds_store_2addr_b32 v0, v7, v16 offset1:1
	ds_store_2addr_b32 v0, v14, v11 offset0:2 offset1:3
	v_dual_cndmask_b32 v9, 0, v9, vcc_lo :: v_dual_lshlrev_b32 v7, 2, v10
	s_mov_b32 s1, 0
	s_mov_b32 s0, exec_lo
	s_wait_dscnt 0x0
	s_barrier_signal -1
	s_barrier_wait -1
	v_cmpx_lt_i32_e64 v9, v8
	s_cbranch_execz .LBB3_36
; %bb.33:
	v_lshlrev_b32_e32 v11, 2, v6
	s_delay_alu instid0(VALU_DEP_1)
	v_lshl_add_u32 v11, v3, 2, v11
.LBB3_34:                               ; =>This Inner Loop Header: Depth=1
	v_sub_nc_u32_e32 v12, v8, v9
	s_delay_alu instid0(VALU_DEP_1) | instskip(NEXT) | instid1(VALU_DEP_1)
	v_lshrrev_b32_e32 v12, 1, v12
	v_add_nc_u32_e32 v12, v12, v9
	s_delay_alu instid0(VALU_DEP_1) | instskip(SKIP_1) | instid1(VALU_DEP_2)
	v_not_b32_e32 v13, v12
	v_lshl_add_u32 v14, v12, 2, v7
	v_lshl_add_u32 v13, v13, 2, v11
	ds_load_b32 v14, v14
	ds_load_b32 v13, v13
	s_wait_dscnt 0x0
	v_cmp_lt_i32_e32 vcc_lo, v13, v14
	v_dual_cndmask_b32 v8, v8, v12 :: v_dual_add_nc_u32 v15, 1, v12
	s_delay_alu instid0(VALU_DEP_1) | instskip(NEXT) | instid1(VALU_DEP_1)
	v_cndmask_b32_e32 v9, v15, v9, vcc_lo
	v_cmp_ge_i32_e32 vcc_lo, v9, v8
	s_or_b32 s1, vcc_lo, s1
	s_delay_alu instid0(SALU_CYCLE_1)
	s_and_not1_b32 exec_lo, exec_lo, s1
	s_cbranch_execnz .LBB3_34
; %bb.35:
	s_or_b32 exec_lo, exec_lo, s1
.LBB3_36:
	s_delay_alu instid0(SALU_CYCLE_1) | instskip(SKIP_2) | instid1(VALU_DEP_2)
	s_or_b32 exec_lo, exec_lo, s0
	v_add_nc_u32_e32 v6, v3, v6
	v_lshl_add_u32 v13, v9, 2, v7
	v_dual_add_nc_u32 v10, v9, v10 :: v_dual_sub_nc_u32 v11, v6, v9
                                        ; implicit-def: $vgpr6
	s_delay_alu instid0(VALU_DEP_1) | instskip(NEXT) | instid1(VALU_DEP_2)
	v_cmp_le_i32_e32 vcc_lo, v3, v10
	v_lshlrev_b32_e32 v12, 2, v11
	v_cmp_gt_i32_e64 s1, v1, v11
	ds_load_b32 v7, v13
	ds_load_b32 v8, v12
	s_wait_dscnt 0x0
	v_cmp_lt_i32_e64 s0, v8, v7
	s_or_b32 s0, vcc_lo, s0
	s_delay_alu instid0(SALU_CYCLE_1) | instskip(NEXT) | instid1(SALU_CYCLE_1)
	s_and_b32 vcc_lo, s1, s0
	s_xor_b32 s0, vcc_lo, -1
	s_delay_alu instid0(SALU_CYCLE_1) | instskip(NEXT) | instid1(SALU_CYCLE_1)
	s_and_saveexec_b32 s1, s0
	s_xor_b32 s0, exec_lo, s1
; %bb.37:
	ds_load_b32 v6, v13 offset:4
                                        ; implicit-def: $vgpr12
; %bb.38:
	s_or_saveexec_b32 s0, s0
	v_mov_b32_e32 v9, v8
	s_xor_b32 exec_lo, exec_lo, s0
	s_cbranch_execz .LBB3_40
; %bb.39:
	ds_load_b32 v9, v12 offset:4
	s_wait_dscnt 0x1
	v_mov_b32_e32 v6, v7
.LBB3_40:
	s_or_b32 exec_lo, exec_lo, s0
	v_dual_add_nc_u32 v12, 1, v10 :: v_dual_add_nc_u32 v13, 1, v11
	s_wait_dscnt 0x0
	s_delay_alu instid0(VALU_DEP_2) | instskip(NEXT) | instid1(VALU_DEP_2)
	v_cmp_lt_i32_e64 s1, v9, v6
	v_dual_cndmask_b32 v12, v12, v10 :: v_dual_cndmask_b32 v11, v11, v13
                                        ; implicit-def: $vgpr10
	s_delay_alu instid0(VALU_DEP_1) | instskip(NEXT) | instid1(VALU_DEP_2)
	v_cmp_ge_i32_e64 s0, v12, v3
	v_cmp_lt_i32_e64 s2, v11, v1
	s_or_b32 s0, s0, s1
	s_delay_alu instid0(SALU_CYCLE_1) | instskip(NEXT) | instid1(SALU_CYCLE_1)
	s_and_b32 s0, s2, s0
	s_xor_b32 s1, s0, -1
	s_delay_alu instid0(SALU_CYCLE_1) | instskip(NEXT) | instid1(SALU_CYCLE_1)
	s_and_saveexec_b32 s2, s1
	s_xor_b32 s1, exec_lo, s2
; %bb.41:
	v_lshlrev_b32_e32 v10, 2, v12
	ds_load_b32 v10, v10 offset:4
; %bb.42:
	s_or_saveexec_b32 s1, s1
	v_mov_b32_e32 v14, v9
	s_xor_b32 exec_lo, exec_lo, s1
	s_cbranch_execz .LBB3_44
; %bb.43:
	s_wait_dscnt 0x0
	v_lshlrev_b32_e32 v10, 2, v11
	ds_load_b32 v14, v10 offset:4
	v_mov_b32_e32 v10, v6
.LBB3_44:
	s_or_b32 exec_lo, exec_lo, s1
	v_dual_add_nc_u32 v13, 1, v12 :: v_dual_add_nc_u32 v15, 1, v11
	s_wait_dscnt 0x0
	s_delay_alu instid0(VALU_DEP_2) | instskip(NEXT) | instid1(VALU_DEP_2)
	v_cmp_lt_i32_e64 s2, v14, v10
	v_dual_cndmask_b32 v13, v13, v12, s0 :: v_dual_cndmask_b32 v11, v11, v15, s0
                                        ; implicit-def: $vgpr12
	s_delay_alu instid0(VALU_DEP_1) | instskip(NEXT) | instid1(VALU_DEP_2)
	v_cmp_ge_i32_e64 s1, v13, v3
	v_cmp_lt_i32_e64 s3, v11, v1
	s_or_b32 s1, s1, s2
	s_delay_alu instid0(SALU_CYCLE_1) | instskip(NEXT) | instid1(SALU_CYCLE_1)
	s_and_b32 s1, s3, s1
	s_xor_b32 s2, s1, -1
	s_delay_alu instid0(SALU_CYCLE_1) | instskip(NEXT) | instid1(SALU_CYCLE_1)
	s_and_saveexec_b32 s3, s2
	s_xor_b32 s2, exec_lo, s3
; %bb.45:
	v_lshlrev_b32_e32 v12, 2, v13
	ds_load_b32 v12, v12 offset:4
; %bb.46:
	s_or_saveexec_b32 s2, s2
	v_mov_b32_e32 v15, v14
	s_xor_b32 exec_lo, exec_lo, s2
	s_cbranch_execz .LBB3_48
; %bb.47:
	s_wait_dscnt 0x0
	v_lshlrev_b32_e32 v12, 2, v11
	ds_load_b32 v15, v12 offset:4
	v_mov_b32_e32 v12, v10
.LBB3_48:
	s_or_b32 exec_lo, exec_lo, s2
	v_dual_add_nc_u32 v16, 1, v13 :: v_dual_add_nc_u32 v17, 1, v11
	v_cndmask_b32_e64 v14, v10, v14, s1
	v_and_b32_e32 v10, 0x1c0, v2
	s_delay_alu instid0(VALU_DEP_3)
	v_dual_cndmask_b32 v7, v7, v8, vcc_lo :: v_dual_cndmask_b32 v13, v16, v13, s1
	v_cndmask_b32_e64 v16, v6, v9, s0
	v_cndmask_b32_e64 v9, v11, v17, s1
	s_wait_dscnt 0x0
	v_cmp_lt_i32_e64 s0, v15, v12
	v_or_b32_e32 v6, 32, v10
	v_cmp_ge_i32_e64 s1, v13, v3
	v_add_nc_u32_e32 v3, 64, v10
	v_cmp_lt_i32_e64 s2, v9, v1
	v_and_b32_e32 v1, 60, v2
	s_or_b32 s0, s1, s0
	s_barrier_signal -1
	s_and_b32 vcc_lo, s2, s0
	v_dual_cndmask_b32 v11, v12, v15 :: v_dual_sub_nc_u32 v8, v3, v6
	s_barrier_wait -1
	s_delay_alu instid0(VALU_DEP_1)
	v_dual_sub_nc_u32 v12, v6, v10 :: v_dual_sub_nc_u32 v9, v1, v8
	v_cmp_ge_i32_e32 vcc_lo, v1, v8
	ds_store_2addr_b32 v0, v7, v16 offset1:1
	ds_store_2addr_b32 v0, v14, v11 offset0:2 offset1:3
	v_dual_lshlrev_b32 v7, 2, v10 :: v_dual_min_i32 v8, v1, v12
	s_mov_b32 s1, 0
	v_cndmask_b32_e32 v9, 0, v9, vcc_lo
	s_mov_b32 s0, exec_lo
	s_wait_dscnt 0x0
	s_barrier_signal -1
	s_barrier_wait -1
	v_cmpx_lt_i32_e64 v9, v8
	s_cbranch_execz .LBB3_52
; %bb.49:
	v_lshlrev_b32_e32 v11, 2, v1
	s_delay_alu instid0(VALU_DEP_1)
	v_lshl_add_u32 v11, v6, 2, v11
.LBB3_50:                               ; =>This Inner Loop Header: Depth=1
	v_sub_nc_u32_e32 v12, v8, v9
	s_delay_alu instid0(VALU_DEP_1) | instskip(NEXT) | instid1(VALU_DEP_1)
	v_lshrrev_b32_e32 v12, 1, v12
	v_add_nc_u32_e32 v12, v12, v9
	s_delay_alu instid0(VALU_DEP_1) | instskip(SKIP_1) | instid1(VALU_DEP_2)
	v_not_b32_e32 v13, v12
	v_lshl_add_u32 v14, v12, 2, v7
	v_lshl_add_u32 v13, v13, 2, v11
	ds_load_b32 v14, v14
	ds_load_b32 v13, v13
	s_wait_dscnt 0x0
	v_cmp_lt_i32_e32 vcc_lo, v13, v14
	v_dual_cndmask_b32 v8, v8, v12 :: v_dual_add_nc_u32 v15, 1, v12
	s_delay_alu instid0(VALU_DEP_1) | instskip(NEXT) | instid1(VALU_DEP_1)
	v_cndmask_b32_e32 v9, v15, v9, vcc_lo
	v_cmp_ge_i32_e32 vcc_lo, v9, v8
	s_or_b32 s1, vcc_lo, s1
	s_delay_alu instid0(SALU_CYCLE_1)
	s_and_not1_b32 exec_lo, exec_lo, s1
	s_cbranch_execnz .LBB3_50
; %bb.51:
	s_or_b32 exec_lo, exec_lo, s1
.LBB3_52:
	s_delay_alu instid0(SALU_CYCLE_1) | instskip(SKIP_3) | instid1(VALU_DEP_3)
	s_or_b32 exec_lo, exec_lo, s0
	v_add_nc_u32_e32 v1, v6, v1
	v_lshl_add_u32 v13, v9, 2, v7
	v_add_nc_u32_e32 v10, v9, v10
	v_sub_nc_u32_e32 v11, v1, v9
                                        ; implicit-def: $vgpr1
	s_delay_alu instid0(VALU_DEP_2) | instskip(NEXT) | instid1(VALU_DEP_2)
	v_cmp_le_i32_e32 vcc_lo, v6, v10
	v_lshlrev_b32_e32 v12, 2, v11
	v_cmp_gt_i32_e64 s1, v3, v11
	ds_load_b32 v7, v13
	ds_load_b32 v8, v12
	s_wait_dscnt 0x0
	v_cmp_lt_i32_e64 s0, v8, v7
	s_or_b32 s0, vcc_lo, s0
	s_delay_alu instid0(SALU_CYCLE_1) | instskip(NEXT) | instid1(SALU_CYCLE_1)
	s_and_b32 vcc_lo, s1, s0
	s_xor_b32 s0, vcc_lo, -1
	s_delay_alu instid0(SALU_CYCLE_1) | instskip(NEXT) | instid1(SALU_CYCLE_1)
	s_and_saveexec_b32 s1, s0
	s_xor_b32 s0, exec_lo, s1
; %bb.53:
	ds_load_b32 v1, v13 offset:4
                                        ; implicit-def: $vgpr12
; %bb.54:
	s_or_saveexec_b32 s0, s0
	v_mov_b32_e32 v9, v8
	s_xor_b32 exec_lo, exec_lo, s0
	s_cbranch_execz .LBB3_56
; %bb.55:
	ds_load_b32 v9, v12 offset:4
	s_wait_dscnt 0x1
	v_mov_b32_e32 v1, v7
.LBB3_56:
	s_or_b32 exec_lo, exec_lo, s0
	v_dual_add_nc_u32 v12, 1, v10 :: v_dual_add_nc_u32 v13, 1, v11
	s_wait_dscnt 0x0
	s_delay_alu instid0(VALU_DEP_2) | instskip(NEXT) | instid1(VALU_DEP_2)
	v_cmp_lt_i32_e64 s1, v9, v1
	v_dual_cndmask_b32 v12, v12, v10 :: v_dual_cndmask_b32 v11, v11, v13
                                        ; implicit-def: $vgpr10
	s_delay_alu instid0(VALU_DEP_1) | instskip(NEXT) | instid1(VALU_DEP_2)
	v_cmp_ge_i32_e64 s0, v12, v6
	v_cmp_lt_i32_e64 s2, v11, v3
	s_or_b32 s0, s0, s1
	s_delay_alu instid0(SALU_CYCLE_1) | instskip(NEXT) | instid1(SALU_CYCLE_1)
	s_and_b32 s0, s2, s0
	s_xor_b32 s1, s0, -1
	s_delay_alu instid0(SALU_CYCLE_1) | instskip(NEXT) | instid1(SALU_CYCLE_1)
	s_and_saveexec_b32 s2, s1
	s_xor_b32 s1, exec_lo, s2
; %bb.57:
	v_lshlrev_b32_e32 v10, 2, v12
	ds_load_b32 v10, v10 offset:4
; %bb.58:
	s_or_saveexec_b32 s1, s1
	v_mov_b32_e32 v14, v9
	s_xor_b32 exec_lo, exec_lo, s1
	s_cbranch_execz .LBB3_60
; %bb.59:
	s_wait_dscnt 0x0
	v_lshlrev_b32_e32 v10, 2, v11
	ds_load_b32 v14, v10 offset:4
	v_mov_b32_e32 v10, v1
.LBB3_60:
	s_or_b32 exec_lo, exec_lo, s1
	v_dual_add_nc_u32 v13, 1, v12 :: v_dual_add_nc_u32 v15, 1, v11
	s_wait_dscnt 0x0
	s_delay_alu instid0(VALU_DEP_2) | instskip(NEXT) | instid1(VALU_DEP_2)
	v_cmp_lt_i32_e64 s2, v14, v10
	v_dual_cndmask_b32 v13, v13, v12, s0 :: v_dual_cndmask_b32 v11, v11, v15, s0
                                        ; implicit-def: $vgpr12
	s_delay_alu instid0(VALU_DEP_1) | instskip(NEXT) | instid1(VALU_DEP_2)
	v_cmp_ge_i32_e64 s1, v13, v6
	v_cmp_lt_i32_e64 s3, v11, v3
	s_or_b32 s1, s1, s2
	s_delay_alu instid0(SALU_CYCLE_1) | instskip(NEXT) | instid1(SALU_CYCLE_1)
	s_and_b32 s1, s3, s1
	s_xor_b32 s2, s1, -1
	s_delay_alu instid0(SALU_CYCLE_1) | instskip(NEXT) | instid1(SALU_CYCLE_1)
	s_and_saveexec_b32 s3, s2
	s_xor_b32 s2, exec_lo, s3
; %bb.61:
	v_lshlrev_b32_e32 v12, 2, v13
	ds_load_b32 v12, v12 offset:4
; %bb.62:
	s_or_saveexec_b32 s2, s2
	v_mov_b32_e32 v15, v14
	s_xor_b32 exec_lo, exec_lo, s2
	s_cbranch_execz .LBB3_64
; %bb.63:
	s_wait_dscnt 0x0
	v_lshlrev_b32_e32 v12, 2, v11
	ds_load_b32 v15, v12 offset:4
	v_mov_b32_e32 v12, v10
.LBB3_64:
	s_or_b32 exec_lo, exec_lo, s2
	v_dual_add_nc_u32 v16, 1, v13 :: v_dual_add_nc_u32 v17, 1, v11
	v_cndmask_b32_e64 v14, v10, v14, s1
	v_and_b32_e32 v10, 0x180, v2
	s_wait_dscnt 0x0
	s_delay_alu instid0(VALU_DEP_3) | instskip(SKIP_1) | instid1(VALU_DEP_3)
	v_cndmask_b32_e64 v13, v16, v13, s1
	v_cndmask_b32_e64 v16, v1, v9, s0
	v_dual_cndmask_b32 v9, v11, v17, s1 :: v_dual_bitop2_b32 v1, 64, v10 bitop3:0x54
	v_cmp_lt_i32_e64 s0, v15, v12
	s_delay_alu instid0(VALU_DEP_4) | instskip(SKIP_1) | instid1(VALU_DEP_4)
	v_cmp_ge_i32_e64 s1, v13, v6
	v_dual_cndmask_b32 v7, v7, v8 :: v_dual_add_nc_u32 v6, 0x80, v10
	v_cmp_lt_i32_e64 s2, v9, v3
	v_and_b32_e32 v3, 0x7c, v2
	s_or_b32 s0, s1, s0
	v_sub_nc_u32_e32 v8, v6, v1
	s_barrier_signal -1
	s_and_b32 vcc_lo, s2, s0
	s_barrier_wait -1
	v_dual_cndmask_b32 v11, v12, v15 :: v_dual_sub_nc_u32 v12, v1, v10
	v_sub_nc_u32_e32 v9, v3, v8
	v_cmp_ge_i32_e32 vcc_lo, v3, v8
	ds_store_2addr_b32 v0, v7, v16 offset1:1
	ds_store_2addr_b32 v0, v14, v11 offset0:2 offset1:3
	v_dual_lshlrev_b32 v7, 2, v10 :: v_dual_min_i32 v8, v3, v12
	v_cndmask_b32_e32 v9, 0, v9, vcc_lo
	s_mov_b32 s1, 0
	s_mov_b32 s0, exec_lo
	s_wait_dscnt 0x0
	s_barrier_signal -1
	s_barrier_wait -1
	v_cmpx_lt_i32_e64 v9, v8
	s_cbranch_execz .LBB3_68
; %bb.65:
	v_lshlrev_b32_e32 v11, 2, v3
	s_delay_alu instid0(VALU_DEP_1)
	v_lshl_add_u32 v11, v1, 2, v11
.LBB3_66:                               ; =>This Inner Loop Header: Depth=1
	v_sub_nc_u32_e32 v12, v8, v9
	s_delay_alu instid0(VALU_DEP_1) | instskip(NEXT) | instid1(VALU_DEP_1)
	v_lshrrev_b32_e32 v12, 1, v12
	v_add_nc_u32_e32 v12, v12, v9
	s_delay_alu instid0(VALU_DEP_1) | instskip(SKIP_1) | instid1(VALU_DEP_2)
	v_not_b32_e32 v13, v12
	v_lshl_add_u32 v14, v12, 2, v7
	v_lshl_add_u32 v13, v13, 2, v11
	ds_load_b32 v14, v14
	ds_load_b32 v13, v13
	s_wait_dscnt 0x0
	v_cmp_lt_i32_e32 vcc_lo, v13, v14
	v_dual_cndmask_b32 v8, v8, v12 :: v_dual_add_nc_u32 v15, 1, v12
	s_delay_alu instid0(VALU_DEP_1) | instskip(NEXT) | instid1(VALU_DEP_1)
	v_cndmask_b32_e32 v9, v15, v9, vcc_lo
	v_cmp_ge_i32_e32 vcc_lo, v9, v8
	s_or_b32 s1, vcc_lo, s1
	s_delay_alu instid0(SALU_CYCLE_1)
	s_and_not1_b32 exec_lo, exec_lo, s1
	s_cbranch_execnz .LBB3_66
; %bb.67:
	s_or_b32 exec_lo, exec_lo, s1
.LBB3_68:
	s_delay_alu instid0(SALU_CYCLE_1) | instskip(SKIP_2) | instid1(VALU_DEP_2)
	s_or_b32 exec_lo, exec_lo, s0
	v_add_nc_u32_e32 v3, v1, v3
	v_lshl_add_u32 v13, v9, 2, v7
	v_dual_add_nc_u32 v10, v9, v10 :: v_dual_sub_nc_u32 v11, v3, v9
                                        ; implicit-def: $vgpr3
	s_delay_alu instid0(VALU_DEP_1) | instskip(NEXT) | instid1(VALU_DEP_2)
	v_cmp_le_i32_e32 vcc_lo, v1, v10
	v_lshlrev_b32_e32 v12, 2, v11
	v_cmp_gt_i32_e64 s1, v6, v11
	ds_load_b32 v7, v13
	ds_load_b32 v8, v12
	s_wait_dscnt 0x0
	v_cmp_lt_i32_e64 s0, v8, v7
	s_or_b32 s0, vcc_lo, s0
	s_delay_alu instid0(SALU_CYCLE_1) | instskip(NEXT) | instid1(SALU_CYCLE_1)
	s_and_b32 vcc_lo, s1, s0
	s_xor_b32 s0, vcc_lo, -1
	s_delay_alu instid0(SALU_CYCLE_1) | instskip(NEXT) | instid1(SALU_CYCLE_1)
	s_and_saveexec_b32 s1, s0
	s_xor_b32 s0, exec_lo, s1
; %bb.69:
	ds_load_b32 v3, v13 offset:4
                                        ; implicit-def: $vgpr12
; %bb.70:
	s_or_saveexec_b32 s0, s0
	v_mov_b32_e32 v9, v8
	s_xor_b32 exec_lo, exec_lo, s0
	s_cbranch_execz .LBB3_72
; %bb.71:
	ds_load_b32 v9, v12 offset:4
	s_wait_dscnt 0x1
	v_mov_b32_e32 v3, v7
.LBB3_72:
	s_or_b32 exec_lo, exec_lo, s0
	v_dual_add_nc_u32 v12, 1, v10 :: v_dual_add_nc_u32 v13, 1, v11
	s_wait_dscnt 0x0
	s_delay_alu instid0(VALU_DEP_2) | instskip(NEXT) | instid1(VALU_DEP_2)
	v_cmp_lt_i32_e64 s1, v9, v3
	v_dual_cndmask_b32 v12, v12, v10 :: v_dual_cndmask_b32 v11, v11, v13
                                        ; implicit-def: $vgpr10
	s_delay_alu instid0(VALU_DEP_1) | instskip(NEXT) | instid1(VALU_DEP_2)
	v_cmp_ge_i32_e64 s0, v12, v1
	v_cmp_lt_i32_e64 s2, v11, v6
	s_or_b32 s0, s0, s1
	s_delay_alu instid0(SALU_CYCLE_1) | instskip(NEXT) | instid1(SALU_CYCLE_1)
	s_and_b32 s0, s2, s0
	s_xor_b32 s1, s0, -1
	s_delay_alu instid0(SALU_CYCLE_1) | instskip(NEXT) | instid1(SALU_CYCLE_1)
	s_and_saveexec_b32 s2, s1
	s_xor_b32 s1, exec_lo, s2
; %bb.73:
	v_lshlrev_b32_e32 v10, 2, v12
	ds_load_b32 v10, v10 offset:4
; %bb.74:
	s_or_saveexec_b32 s1, s1
	v_mov_b32_e32 v14, v9
	s_xor_b32 exec_lo, exec_lo, s1
	s_cbranch_execz .LBB3_76
; %bb.75:
	s_wait_dscnt 0x0
	v_lshlrev_b32_e32 v10, 2, v11
	ds_load_b32 v14, v10 offset:4
	v_mov_b32_e32 v10, v3
.LBB3_76:
	s_or_b32 exec_lo, exec_lo, s1
	v_dual_add_nc_u32 v13, 1, v12 :: v_dual_add_nc_u32 v15, 1, v11
	s_wait_dscnt 0x0
	s_delay_alu instid0(VALU_DEP_2) | instskip(NEXT) | instid1(VALU_DEP_2)
	v_cmp_lt_i32_e64 s2, v14, v10
	v_dual_cndmask_b32 v13, v13, v12, s0 :: v_dual_cndmask_b32 v11, v11, v15, s0
                                        ; implicit-def: $vgpr12
	s_delay_alu instid0(VALU_DEP_1) | instskip(NEXT) | instid1(VALU_DEP_2)
	v_cmp_ge_i32_e64 s1, v13, v1
	v_cmp_lt_i32_e64 s3, v11, v6
	s_or_b32 s1, s1, s2
	s_delay_alu instid0(SALU_CYCLE_1) | instskip(NEXT) | instid1(SALU_CYCLE_1)
	s_and_b32 s1, s3, s1
	s_xor_b32 s2, s1, -1
	s_delay_alu instid0(SALU_CYCLE_1) | instskip(NEXT) | instid1(SALU_CYCLE_1)
	s_and_saveexec_b32 s3, s2
	s_xor_b32 s2, exec_lo, s3
; %bb.77:
	v_lshlrev_b32_e32 v12, 2, v13
	ds_load_b32 v12, v12 offset:4
; %bb.78:
	s_or_saveexec_b32 s2, s2
	v_mov_b32_e32 v15, v14
	s_xor_b32 exec_lo, exec_lo, s2
	s_cbranch_execz .LBB3_80
; %bb.79:
	s_wait_dscnt 0x0
	v_lshlrev_b32_e32 v12, 2, v11
	ds_load_b32 v15, v12 offset:4
	v_mov_b32_e32 v12, v10
.LBB3_80:
	s_or_b32 exec_lo, exec_lo, s2
	v_dual_add_nc_u32 v16, 1, v13 :: v_dual_add_nc_u32 v17, 1, v11
	v_cndmask_b32_e64 v14, v10, v14, s1
	v_and_b32_e32 v10, 0x100, v2
	s_wait_dscnt 0x0
	s_delay_alu instid0(VALU_DEP_3)
	v_cndmask_b32_e64 v13, v16, v13, s1
	v_cndmask_b32_e64 v16, v3, v9, s0
	;; [unrolled: 1-line block ×3, first 2 shown]
	v_or_b32_e32 v3, 0x80, v10
	v_cmp_lt_i32_e64 s0, v15, v12
	v_cmp_ge_i32_e64 s1, v13, v1
	v_add_nc_u32_e32 v1, 0x100, v10
	v_cmp_lt_i32_e64 s2, v9, v6
	v_and_b32_e32 v6, 0xfc, v2
	v_cndmask_b32_e32 v7, v7, v8, vcc_lo
	s_or_b32 s0, s1, s0
	v_sub_nc_u32_e32 v8, v1, v3
	s_and_b32 vcc_lo, s2, s0
	s_barrier_signal -1
	v_dual_cndmask_b32 v11, v12, v15 :: v_dual_sub_nc_u32 v12, v3, v10
	s_delay_alu instid0(VALU_DEP_2)
	v_sub_nc_u32_e32 v9, v6, v8
	v_cmp_ge_i32_e32 vcc_lo, v6, v8
	s_barrier_wait -1
	ds_store_2addr_b32 v0, v7, v16 offset1:1
	ds_store_2addr_b32 v0, v14, v11 offset0:2 offset1:3
	v_dual_cndmask_b32 v8, 0, v9 :: v_dual_lshlrev_b32 v7, 2, v10
	v_min_i32_e32 v9, v6, v12
	s_mov_b32 s1, 0
	s_mov_b32 s0, exec_lo
	s_wait_dscnt 0x0
	s_barrier_signal -1
	s_barrier_wait -1
	v_cmpx_lt_i32_e64 v8, v9
	s_cbranch_execz .LBB3_84
; %bb.81:
	v_lshlrev_b32_e32 v11, 2, v6
	s_delay_alu instid0(VALU_DEP_1)
	v_lshl_add_u32 v11, v3, 2, v11
.LBB3_82:                               ; =>This Inner Loop Header: Depth=1
	v_sub_nc_u32_e32 v12, v9, v8
	s_delay_alu instid0(VALU_DEP_1) | instskip(NEXT) | instid1(VALU_DEP_1)
	v_lshrrev_b32_e32 v12, 1, v12
	v_add_nc_u32_e32 v12, v12, v8
	s_delay_alu instid0(VALU_DEP_1) | instskip(SKIP_1) | instid1(VALU_DEP_2)
	v_not_b32_e32 v13, v12
	v_lshl_add_u32 v14, v12, 2, v7
	v_lshl_add_u32 v13, v13, 2, v11
	ds_load_b32 v14, v14
	ds_load_b32 v13, v13
	s_wait_dscnt 0x0
	v_cmp_lt_i32_e32 vcc_lo, v13, v14
	v_dual_add_nc_u32 v15, 1, v12 :: v_dual_cndmask_b32 v9, v9, v12, vcc_lo
	s_delay_alu instid0(VALU_DEP_1) | instskip(NEXT) | instid1(VALU_DEP_1)
	v_cndmask_b32_e32 v8, v15, v8, vcc_lo
	v_cmp_ge_i32_e32 vcc_lo, v8, v9
	s_or_b32 s1, vcc_lo, s1
	s_delay_alu instid0(SALU_CYCLE_1)
	s_and_not1_b32 exec_lo, exec_lo, s1
	s_cbranch_execnz .LBB3_82
; %bb.83:
	s_or_b32 exec_lo, exec_lo, s1
.LBB3_84:
	s_delay_alu instid0(SALU_CYCLE_1) | instskip(SKIP_2) | instid1(VALU_DEP_2)
	s_or_b32 exec_lo, exec_lo, s0
	v_add_nc_u32_e32 v6, v3, v6
	v_lshl_add_u32 v9, v8, 2, v7
	v_dual_add_nc_u32 v10, v8, v10 :: v_dual_sub_nc_u32 v11, v6, v8
                                        ; implicit-def: $vgpr8
	s_delay_alu instid0(VALU_DEP_1) | instskip(NEXT) | instid1(VALU_DEP_2)
	v_cmp_le_i32_e32 vcc_lo, v3, v10
	v_lshlrev_b32_e32 v12, 2, v11
	v_cmp_gt_i32_e64 s1, v1, v11
	ds_load_b32 v6, v9
	ds_load_b32 v7, v12
	s_wait_dscnt 0x0
	v_cmp_lt_i32_e64 s0, v7, v6
	s_or_b32 s0, vcc_lo, s0
	s_delay_alu instid0(SALU_CYCLE_1) | instskip(NEXT) | instid1(SALU_CYCLE_1)
	s_and_b32 vcc_lo, s1, s0
	s_xor_b32 s0, vcc_lo, -1
	s_delay_alu instid0(SALU_CYCLE_1) | instskip(NEXT) | instid1(SALU_CYCLE_1)
	s_and_saveexec_b32 s1, s0
	s_xor_b32 s0, exec_lo, s1
; %bb.85:
	ds_load_b32 v8, v9 offset:4
                                        ; implicit-def: $vgpr12
; %bb.86:
	s_or_saveexec_b32 s0, s0
	v_mov_b32_e32 v9, v7
	s_xor_b32 exec_lo, exec_lo, s0
	s_cbranch_execz .LBB3_88
; %bb.87:
	ds_load_b32 v9, v12 offset:4
	s_wait_dscnt 0x1
	v_mov_b32_e32 v8, v6
.LBB3_88:
	s_or_b32 exec_lo, exec_lo, s0
	v_dual_add_nc_u32 v12, 1, v10 :: v_dual_add_nc_u32 v14, 1, v11
	s_wait_dscnt 0x0
	s_delay_alu instid0(VALU_DEP_2) | instskip(NEXT) | instid1(VALU_DEP_2)
	v_cmp_lt_i32_e64 s1, v9, v8
	v_cndmask_b32_e32 v13, v12, v10, vcc_lo
	s_delay_alu instid0(VALU_DEP_3) | instskip(NEXT) | instid1(VALU_DEP_2)
	v_cndmask_b32_e32 v11, v11, v14, vcc_lo
                                        ; implicit-def: $vgpr10
	v_cmp_ge_i32_e64 s0, v13, v3
	s_delay_alu instid0(VALU_DEP_2) | instskip(SKIP_1) | instid1(SALU_CYCLE_1)
	v_cmp_lt_i32_e64 s2, v11, v1
	s_or_b32 s0, s0, s1
	s_and_b32 s0, s2, s0
	s_delay_alu instid0(SALU_CYCLE_1) | instskip(NEXT) | instid1(SALU_CYCLE_1)
	s_xor_b32 s1, s0, -1
	s_and_saveexec_b32 s2, s1
	s_delay_alu instid0(SALU_CYCLE_1)
	s_xor_b32 s1, exec_lo, s2
; %bb.89:
	v_lshlrev_b32_e32 v10, 2, v13
	ds_load_b32 v10, v10 offset:4
; %bb.90:
	s_or_saveexec_b32 s1, s1
	v_mov_b32_e32 v12, v9
	s_xor_b32 exec_lo, exec_lo, s1
	s_cbranch_execz .LBB3_92
; %bb.91:
	s_wait_dscnt 0x0
	v_lshlrev_b32_e32 v10, 2, v11
	ds_load_b32 v12, v10 offset:4
	v_mov_b32_e32 v10, v8
.LBB3_92:
	s_or_b32 exec_lo, exec_lo, s1
	v_dual_add_nc_u32 v14, 1, v13 :: v_dual_add_nc_u32 v16, 1, v11
	s_wait_dscnt 0x0
	s_delay_alu instid0(VALU_DEP_2) | instskip(NEXT) | instid1(VALU_DEP_2)
	v_cmp_lt_i32_e64 s2, v12, v10
	v_dual_cndmask_b32 v15, v14, v13, s0 :: v_dual_cndmask_b32 v14, v11, v16, s0
                                        ; implicit-def: $vgpr11
	s_delay_alu instid0(VALU_DEP_1) | instskip(NEXT) | instid1(VALU_DEP_2)
	v_cmp_ge_i32_e64 s1, v15, v3
	v_cmp_lt_i32_e64 s3, v14, v1
	s_or_b32 s1, s1, s2
	s_delay_alu instid0(SALU_CYCLE_1) | instskip(NEXT) | instid1(SALU_CYCLE_1)
	s_and_b32 s1, s3, s1
	s_xor_b32 s2, s1, -1
	s_delay_alu instid0(SALU_CYCLE_1) | instskip(NEXT) | instid1(SALU_CYCLE_1)
	s_and_saveexec_b32 s3, s2
	s_xor_b32 s2, exec_lo, s3
; %bb.93:
	v_lshlrev_b32_e32 v11, 2, v15
	ds_load_b32 v11, v11 offset:4
; %bb.94:
	s_or_saveexec_b32 s2, s2
	v_mov_b32_e32 v13, v12
	s_xor_b32 exec_lo, exec_lo, s2
	s_cbranch_execz .LBB3_96
; %bb.95:
	s_wait_dscnt 0x0
	v_lshlrev_b32_e32 v11, 2, v14
	ds_load_b32 v13, v11 offset:4
	v_mov_b32_e32 v11, v10
.LBB3_96:
	s_or_b32 exec_lo, exec_lo, s2
	v_dual_add_nc_u32 v16, 1, v15 :: v_dual_add_nc_u32 v17, 1, v14
	v_dual_cndmask_b32 v10, v10, v12, s1 :: v_dual_cndmask_b32 v8, v8, v9, s0
	v_cndmask_b32_e32 v7, v6, v7, vcc_lo
	s_delay_alu instid0(VALU_DEP_3) | instskip(SKIP_3) | instid1(VALU_DEP_3)
	v_dual_cndmask_b32 v9, v16, v15, s1 :: v_dual_cndmask_b32 v12, v14, v17, s1
	s_wait_dscnt 0x0
	v_cmp_lt_i32_e32 vcc_lo, v13, v11
	v_and_b32_e32 v6, 0x1fc, v2
	v_cmp_ge_i32_e64 s0, v9, v3
	v_cmp_lt_i32_e64 s1, v12, v1
	s_barrier_signal -1
	s_delay_alu instid0(VALU_DEP_3)
	v_subrev_nc_u32_e64 v2, 0x100, v6 clamp
	v_min_i32_e32 v1, 0x100, v6
	s_or_b32 s0, s0, vcc_lo
	s_barrier_wait -1
	s_and_b32 vcc_lo, s1, s0
	s_mov_b32 s0, exec_lo
	v_cndmask_b32_e32 v3, v11, v13, vcc_lo
	ds_store_2addr_b32 v0, v7, v8 offset1:1
	ds_store_2addr_b32 v0, v10, v3 offset0:2 offset1:3
	s_wait_dscnt 0x0
	s_barrier_signal -1
	s_barrier_wait -1
	v_cmpx_lt_i32_e64 v2, v1
	s_cbranch_execz .LBB3_100
; %bb.97:
	v_lshlrev_b32_e32 v0, 2, v6
	s_mov_b32 s1, 0
	s_delay_alu instid0(VALU_DEP_1)
	v_lshl_add_u32 v0, 0x100, 2, v0
.LBB3_98:                               ; =>This Inner Loop Header: Depth=1
	v_sub_nc_u32_e32 v3, v1, v2
	s_delay_alu instid0(VALU_DEP_1) | instskip(NEXT) | instid1(VALU_DEP_1)
	v_lshrrev_b32_e32 v3, 1, v3
	v_add_nc_u32_e32 v3, v3, v2
	s_delay_alu instid0(VALU_DEP_1) | instskip(SKIP_1) | instid1(VALU_DEP_2)
	v_not_b32_e32 v7, v3
	v_dual_lshlrev_b32 v8, 2, v3 :: v_dual_add_nc_u32 v9, 1, v3
	v_lshl_add_u32 v7, v7, 2, v0
	ds_load_b32 v8, v8
	ds_load_b32 v7, v7
	s_wait_dscnt 0x0
	v_cmp_lt_i32_e32 vcc_lo, v7, v8
	v_cndmask_b32_e32 v1, v1, v3, vcc_lo
	v_cndmask_b32_e32 v2, v9, v2, vcc_lo
	s_delay_alu instid0(VALU_DEP_1) | instskip(SKIP_1) | instid1(SALU_CYCLE_1)
	v_cmp_ge_i32_e32 vcc_lo, v2, v1
	s_or_b32 s1, vcc_lo, s1
	s_and_not1_b32 exec_lo, exec_lo, s1
	s_cbranch_execnz .LBB3_98
; %bb.99:
	s_or_b32 exec_lo, exec_lo, s1
.LBB3_100:
	s_delay_alu instid0(SALU_CYCLE_1) | instskip(SKIP_2) | instid1(VALU_DEP_2)
	s_or_b32 exec_lo, exec_lo, s0
	v_add_nc_u32_e32 v0, 0x100, v6
	v_cmp_le_i32_e32 vcc_lo, 0x100, v2
                                        ; implicit-def: $vgpr1
	v_dual_lshlrev_b32 v6, 2, v2 :: v_dual_sub_nc_u32 v7, v0, v2
	s_delay_alu instid0(VALU_DEP_1)
	v_lshlrev_b32_e32 v8, 2, v7
	v_cmp_gt_i32_e64 s1, 0x200, v7
	ds_load_b32 v0, v6
	ds_load_b32 v3, v8
	s_wait_dscnt 0x0
	v_cmp_lt_i32_e64 s0, v3, v0
	s_or_b32 s0, vcc_lo, s0
	s_delay_alu instid0(SALU_CYCLE_1) | instskip(NEXT) | instid1(SALU_CYCLE_1)
	s_and_b32 vcc_lo, s1, s0
	s_xor_b32 s0, vcc_lo, -1
	s_delay_alu instid0(SALU_CYCLE_1) | instskip(NEXT) | instid1(SALU_CYCLE_1)
	s_and_saveexec_b32 s1, s0
	s_xor_b32 s0, exec_lo, s1
; %bb.101:
	ds_load_b32 v1, v6 offset:4
                                        ; implicit-def: $vgpr8
; %bb.102:
	s_or_saveexec_b32 s0, s0
	v_mov_b32_e32 v6, v3
	s_xor_b32 exec_lo, exec_lo, s0
	s_cbranch_execz .LBB3_104
; %bb.103:
	ds_load_b32 v6, v8 offset:4
	s_wait_dscnt 0x1
	v_mov_b32_e32 v1, v0
.LBB3_104:
	s_or_b32 exec_lo, exec_lo, s0
	v_dual_add_nc_u32 v8, 1, v2 :: v_dual_add_nc_u32 v10, 1, v7
	s_wait_dscnt 0x0
	s_delay_alu instid0(VALU_DEP_2) | instskip(NEXT) | instid1(VALU_DEP_2)
	v_cmp_lt_i32_e64 s1, v6, v1
	v_cndmask_b32_e32 v9, v8, v2, vcc_lo
	s_delay_alu instid0(VALU_DEP_3) | instskip(NEXT) | instid1(VALU_DEP_2)
	v_cndmask_b32_e32 v2, v7, v10, vcc_lo
                                        ; implicit-def: $vgpr8
	v_cmp_le_i32_e64 s0, 0x100, v9
	s_delay_alu instid0(VALU_DEP_2) | instskip(SKIP_1) | instid1(SALU_CYCLE_1)
	v_cmp_gt_i32_e64 s2, 0x200, v2
	s_or_b32 s0, s0, s1
	s_and_b32 s0, s2, s0
	s_delay_alu instid0(SALU_CYCLE_1) | instskip(NEXT) | instid1(SALU_CYCLE_1)
	s_xor_b32 s1, s0, -1
	s_and_saveexec_b32 s2, s1
	s_delay_alu instid0(SALU_CYCLE_1)
	s_xor_b32 s1, exec_lo, s2
; %bb.105:
	v_lshlrev_b32_e32 v7, 2, v9
	ds_load_b32 v8, v7 offset:4
; %bb.106:
	s_or_saveexec_b32 s1, s1
	v_mov_b32_e32 v7, v6
	s_xor_b32 exec_lo, exec_lo, s1
	s_cbranch_execz .LBB3_108
; %bb.107:
	s_wait_dscnt 0x0
	v_dual_mov_b32 v8, v1 :: v_dual_lshlrev_b32 v7, 2, v2
	ds_load_b32 v7, v7 offset:4
.LBB3_108:
	s_or_b32 exec_lo, exec_lo, s1
	v_dual_add_nc_u32 v10, 1, v9 :: v_dual_add_nc_u32 v12, 1, v2
	s_wait_dscnt 0x0
	v_cmp_ge_i32_e64 s2, v7, v8
	s_delay_alu instid0(VALU_DEP_2) | instskip(NEXT) | instid1(VALU_DEP_3)
	v_cndmask_b32_e64 v11, v10, v9, s0
	v_cndmask_b32_e64 v9, v2, v12, s0
                                        ; implicit-def: $vgpr10
                                        ; implicit-def: $vgpr12
	s_delay_alu instid0(VALU_DEP_2) | instskip(NEXT) | instid1(VALU_DEP_2)
	v_cmp_gt_i32_e64 s1, 0x100, v11
	v_cmp_lt_i32_e64 s3, 0x1ff, v9
	s_and_b32 s1, s1, s2
	s_delay_alu instid0(SALU_CYCLE_1) | instskip(NEXT) | instid1(SALU_CYCLE_1)
	s_or_b32 s1, s3, s1
	s_and_saveexec_b32 s2, s1
	s_delay_alu instid0(SALU_CYCLE_1)
	s_xor_b32 s1, exec_lo, s2
; %bb.109:
	v_dual_lshlrev_b32 v2, 2, v11 :: v_dual_add_nc_u32 v12, 1, v11
                                        ; implicit-def: $vgpr11
	ds_load_b32 v10, v2 offset:4
; %bb.110:
	s_or_saveexec_b32 s1, s1
	v_mov_b32_e32 v2, v8
	s_xor_b32 exec_lo, exec_lo, s1
	s_cbranch_execz .LBB3_112
; %bb.111:
	v_dual_lshlrev_b32 v2, 2, v9 :: v_dual_add_nc_u32 v9, 1, v9
	v_mov_b32_e32 v12, v11
	ds_load_b32 v13, v2 offset:4
	s_wait_dscnt 0x1
	v_dual_mov_b32 v2, v7 :: v_dual_mov_b32 v10, v8
	s_wait_dscnt 0x0
	v_mov_b32_e32 v7, v13
.LBB3_112:
	s_or_b32 exec_lo, exec_lo, s1
	v_cmp_le_i32_e64 s1, 0x100, v12
	s_wait_dscnt 0x0
	s_delay_alu instid0(VALU_DEP_2) | instskip(SKIP_3) | instid1(SALU_CYCLE_1)
	v_cmp_lt_i32_e64 s2, v7, v10
	v_cmp_gt_i32_e64 s3, 0x200, v9
	v_dual_cndmask_b32 v1, v1, v6, s0 :: v_dual_cndmask_b32 v0, v0, v3, vcc_lo
	s_or_b32 s0, s1, s2
	s_and_b32 vcc_lo, s3, s0
	v_cndmask_b32_e32 v3, v10, v7, vcc_lo
	global_store_b128 v[4:5], v[0:3], off
	s_endpgm
	.section	.rodata,"a",@progbits
	.p2align	6, 0x0
	.amdhsa_kernel _Z15sort_key_kernelILj128ELj4EiN10test_utils4lessEEvPT1_T2_
		.amdhsa_group_segment_fixed_size 2052
		.amdhsa_private_segment_fixed_size 0
		.amdhsa_kernarg_size 12
		.amdhsa_user_sgpr_count 2
		.amdhsa_user_sgpr_dispatch_ptr 0
		.amdhsa_user_sgpr_queue_ptr 0
		.amdhsa_user_sgpr_kernarg_segment_ptr 1
		.amdhsa_user_sgpr_dispatch_id 0
		.amdhsa_user_sgpr_kernarg_preload_length 0
		.amdhsa_user_sgpr_kernarg_preload_offset 0
		.amdhsa_user_sgpr_private_segment_size 0
		.amdhsa_wavefront_size32 1
		.amdhsa_uses_dynamic_stack 0
		.amdhsa_enable_private_segment 0
		.amdhsa_system_sgpr_workgroup_id_x 1
		.amdhsa_system_sgpr_workgroup_id_y 0
		.amdhsa_system_sgpr_workgroup_id_z 0
		.amdhsa_system_sgpr_workgroup_info 0
		.amdhsa_system_vgpr_workitem_id 0
		.amdhsa_next_free_vgpr 20
		.amdhsa_next_free_sgpr 6
		.amdhsa_named_barrier_count 0
		.amdhsa_reserve_vcc 1
		.amdhsa_float_round_mode_32 0
		.amdhsa_float_round_mode_16_64 0
		.amdhsa_float_denorm_mode_32 3
		.amdhsa_float_denorm_mode_16_64 3
		.amdhsa_fp16_overflow 0
		.amdhsa_memory_ordered 1
		.amdhsa_forward_progress 1
		.amdhsa_inst_pref_size 44
		.amdhsa_round_robin_scheduling 0
		.amdhsa_exception_fp_ieee_invalid_op 0
		.amdhsa_exception_fp_denorm_src 0
		.amdhsa_exception_fp_ieee_div_zero 0
		.amdhsa_exception_fp_ieee_overflow 0
		.amdhsa_exception_fp_ieee_underflow 0
		.amdhsa_exception_fp_ieee_inexact 0
		.amdhsa_exception_int_div_zero 0
	.end_amdhsa_kernel
	.section	.text._Z15sort_key_kernelILj128ELj4EiN10test_utils4lessEEvPT1_T2_,"axG",@progbits,_Z15sort_key_kernelILj128ELj4EiN10test_utils4lessEEvPT1_T2_,comdat
.Lfunc_end3:
	.size	_Z15sort_key_kernelILj128ELj4EiN10test_utils4lessEEvPT1_T2_, .Lfunc_end3-_Z15sort_key_kernelILj128ELj4EiN10test_utils4lessEEvPT1_T2_
                                        ; -- End function
	.set _Z15sort_key_kernelILj128ELj4EiN10test_utils4lessEEvPT1_T2_.num_vgpr, 20
	.set _Z15sort_key_kernelILj128ELj4EiN10test_utils4lessEEvPT1_T2_.num_agpr, 0
	.set _Z15sort_key_kernelILj128ELj4EiN10test_utils4lessEEvPT1_T2_.numbered_sgpr, 6
	.set _Z15sort_key_kernelILj128ELj4EiN10test_utils4lessEEvPT1_T2_.num_named_barrier, 0
	.set _Z15sort_key_kernelILj128ELj4EiN10test_utils4lessEEvPT1_T2_.private_seg_size, 0
	.set _Z15sort_key_kernelILj128ELj4EiN10test_utils4lessEEvPT1_T2_.uses_vcc, 1
	.set _Z15sort_key_kernelILj128ELj4EiN10test_utils4lessEEvPT1_T2_.uses_flat_scratch, 0
	.set _Z15sort_key_kernelILj128ELj4EiN10test_utils4lessEEvPT1_T2_.has_dyn_sized_stack, 0
	.set _Z15sort_key_kernelILj128ELj4EiN10test_utils4lessEEvPT1_T2_.has_recursion, 0
	.set _Z15sort_key_kernelILj128ELj4EiN10test_utils4lessEEvPT1_T2_.has_indirect_call, 0
	.section	.AMDGPU.csdata,"",@progbits
; Kernel info:
; codeLenInByte = 5588
; TotalNumSgprs: 8
; NumVgprs: 20
; ScratchSize: 0
; MemoryBound: 0
; FloatMode: 240
; IeeeMode: 1
; LDSByteSize: 2052 bytes/workgroup (compile time only)
; SGPRBlocks: 0
; VGPRBlocks: 1
; NumSGPRsForWavesPerEU: 8
; NumVGPRsForWavesPerEU: 20
; NamedBarCnt: 0
; Occupancy: 16
; WaveLimiterHint : 0
; COMPUTE_PGM_RSRC2:SCRATCH_EN: 0
; COMPUTE_PGM_RSRC2:USER_SGPR: 2
; COMPUTE_PGM_RSRC2:TRAP_HANDLER: 0
; COMPUTE_PGM_RSRC2:TGID_X_EN: 1
; COMPUTE_PGM_RSRC2:TGID_Y_EN: 0
; COMPUTE_PGM_RSRC2:TGID_Z_EN: 0
; COMPUTE_PGM_RSRC2:TIDIG_COMP_CNT: 0
	.section	.text._Z15sort_key_kernelILj64ELj2E12hip_bfloat16N10test_utils7greaterEEvPT1_T2_,"axG",@progbits,_Z15sort_key_kernelILj64ELj2E12hip_bfloat16N10test_utils7greaterEEvPT1_T2_,comdat
	.protected	_Z15sort_key_kernelILj64ELj2E12hip_bfloat16N10test_utils7greaterEEvPT1_T2_ ; -- Begin function _Z15sort_key_kernelILj64ELj2E12hip_bfloat16N10test_utils7greaterEEvPT1_T2_
	.globl	_Z15sort_key_kernelILj64ELj2E12hip_bfloat16N10test_utils7greaterEEvPT1_T2_
	.p2align	8
	.type	_Z15sort_key_kernelILj64ELj2E12hip_bfloat16N10test_utils7greaterEEvPT1_T2_,@function
_Z15sort_key_kernelILj64ELj2E12hip_bfloat16N10test_utils7greaterEEvPT1_T2_: ; @_Z15sort_key_kernelILj64ELj2E12hip_bfloat16N10test_utils7greaterEEvPT1_T2_
; %bb.0:
	s_load_b64 s[2:3], s[0:1], 0x0
	s_wait_xcnt 0x0
	s_bfe_u32 s0, ttmp6, 0x4000c
	s_and_b32 s1, ttmp6, 15
	s_add_co_i32 s0, s0, 1
	s_getreg_b32 s4, hwreg(HW_REG_IB_STS2, 6, 4)
	s_mul_i32 s0, ttmp9, s0
	v_dual_mov_b32 v3, 0 :: v_dual_lshlrev_b32 v4, 1, v0
	s_add_co_i32 s1, s1, s0
	s_cmp_eq_u32 s4, 0
	s_cselect_b32 s0, ttmp9, s1
	s_mov_b32 s1, 0
	s_lshl_b32 s0, s0, 7
	v_and_b32_e32 v7, 0x7c, v4
	s_lshl_b64 s[4:5], s[0:1], 1
	s_delay_alu instid0(VALU_DEP_1)
	v_dual_lshlrev_b32 v2, 2, v0 :: v_dual_lshlrev_b32 v9, 1, v7
	s_wait_kmcnt 0x0
	s_add_nc_u64 s[2:3], s[2:3], s[4:5]
	v_dual_add_nc_u32 v5, 4, v7 :: v_dual_bitop2_b32 v6, 2, v7 bitop3:0x54
	global_load_b32 v1, v0, s[2:3] scale_offset
	v_and_b32_e32 v8, 2, v4
	s_wait_loadcnt 0x0
	s_wait_xcnt 0x0
	v_dual_sub_nc_u32 v0, v6, v7 :: v_dual_sub_nc_u32 v10, v5, v6
	s_barrier_signal -1
	s_barrier_wait -1
	v_and_b32_e32 v11, 0xffff0000, v1
	s_delay_alu instid0(VALU_DEP_2) | instskip(SKIP_3) | instid1(VALU_DEP_4)
	v_dual_lshlrev_b32 v12, 16, v1 :: v_dual_sub_nc_u32 v13, v8, v10
	v_lshrrev_b32_e32 v14, 16, v1
	v_cmp_ge_i32_e64 s0, v8, v10
	v_min_i32_e32 v0, v8, v0
	v_cmp_lt_f32_e32 vcc_lo, v12, v11
	s_delay_alu instid0(VALU_DEP_3)
	v_cndmask_b32_e64 v11, 0, v13, s0
	s_mov_b32 s0, exec_lo
	v_dual_cndmask_b32 v10, v1, v14 :: v_dual_cndmask_b32 v1, v14, v1
	ds_store_b16 v2, v10
	ds_store_b16 v2, v1 offset:2
	s_wait_dscnt 0x0
	s_barrier_signal -1
	s_barrier_wait -1
	v_cmpx_lt_i32_e64 v11, v0
	s_cbranch_execz .LBB4_4
; %bb.1:
	v_lshlrev_b32_e32 v1, 1, v8
	s_delay_alu instid0(VALU_DEP_1)
	v_lshl_add_u32 v1, v6, 1, v1
.LBB4_2:                                ; =>This Inner Loop Header: Depth=1
	v_sub_nc_u32_e32 v10, v0, v11
	s_delay_alu instid0(VALU_DEP_1) | instskip(NEXT) | instid1(VALU_DEP_1)
	v_lshrrev_b32_e32 v10, 1, v10
	v_add_nc_u32_e32 v10, v10, v11
	s_delay_alu instid0(VALU_DEP_1) | instskip(SKIP_1) | instid1(VALU_DEP_2)
	v_not_b32_e32 v12, v10
	v_lshl_add_u32 v13, v10, 1, v9
	v_lshl_add_u32 v12, v12, 1, v1
	ds_load_u16 v13, v13
	ds_load_u16 v12, v12
	s_wait_dscnt 0x0
	v_dual_lshlrev_b32 v13, 16, v13 :: v_dual_lshlrev_b32 v12, 16, v12
	s_delay_alu instid0(VALU_DEP_1) | instskip(SKIP_1) | instid1(VALU_DEP_1)
	v_cmp_lt_f32_e32 vcc_lo, v13, v12
	v_dual_add_nc_u32 v14, 1, v10 :: v_dual_cndmask_b32 v0, v0, v10, vcc_lo
	v_cndmask_b32_e32 v11, v14, v11, vcc_lo
	s_delay_alu instid0(VALU_DEP_1) | instskip(SKIP_1) | instid1(SALU_CYCLE_1)
	v_cmp_ge_i32_e32 vcc_lo, v11, v0
	s_or_b32 s1, vcc_lo, s1
	s_and_not1_b32 exec_lo, exec_lo, s1
	s_cbranch_execnz .LBB4_2
; %bb.3:
	s_or_b32 exec_lo, exec_lo, s1
.LBB4_4:
	s_delay_alu instid0(SALU_CYCLE_1) | instskip(SKIP_3) | instid1(VALU_DEP_2)
	s_or_b32 exec_lo, exec_lo, s0
	v_add_nc_u64_e32 v[0:1], s[2:3], v[2:3]
	v_dual_add_nc_u32 v3, v6, v8 :: v_dual_add_nc_u32 v7, v11, v7
	v_lshl_add_u32 v14, v11, 1, v9
	v_sub_nc_u32_e32 v3, v3, v11
	s_delay_alu instid0(VALU_DEP_3) | instskip(NEXT) | instid1(VALU_DEP_2)
	v_cmp_le_i32_e32 vcc_lo, v6, v7
                                        ; implicit-def: $vgpr11
	v_lshlrev_b32_e32 v8, 1, v3
	ds_load_u16 v9, v14
	ds_load_u16 v10, v8
	s_wait_dscnt 0x0
	v_dual_lshlrev_b32 v12, 16, v9 :: v_dual_lshlrev_b32 v13, 16, v10
	v_cmp_gt_i32_e64 s1, v5, v3
	s_delay_alu instid0(VALU_DEP_2) | instskip(SKIP_1) | instid1(SALU_CYCLE_1)
	v_cmp_lt_f32_e64 s0, v12, v13
	s_or_b32 s0, vcc_lo, s0
	s_and_b32 vcc_lo, s1, s0
	s_delay_alu instid0(SALU_CYCLE_1) | instskip(NEXT) | instid1(SALU_CYCLE_1)
	s_xor_b32 s0, vcc_lo, -1
	s_and_saveexec_b32 s1, s0
	s_delay_alu instid0(SALU_CYCLE_1)
	s_xor_b32 s0, exec_lo, s1
	s_cbranch_execz .LBB4_6
; %bb.5:
	ds_load_u16 v11, v14 offset:2
                                        ; implicit-def: $vgpr8
	s_wait_dscnt 0x0
	v_lshlrev_b32_e32 v12, 16, v11
.LBB4_6:
	s_or_saveexec_b32 s0, s0
	v_mov_b32_e32 v14, v10
	s_xor_b32 exec_lo, exec_lo, s0
	s_cbranch_execz .LBB4_8
; %bb.7:
	ds_load_u16 v14, v8 offset:2
	s_wait_dscnt 0x0
	v_dual_mov_b32 v11, v9 :: v_dual_lshlrev_b32 v13, 16, v14
.LBB4_8:
	s_or_b32 exec_lo, exec_lo, s0
	v_dual_add_nc_u32 v15, 1, v7 :: v_dual_cndmask_b32 v17, v9, v10, vcc_lo
	v_and_b32_e32 v8, 0x78, v4
	v_add_nc_u32_e32 v16, 1, v3
	v_cmp_lt_f32_e64 s0, v12, v13
	s_delay_alu instid0(VALU_DEP_4) | instskip(NEXT) | instid1(VALU_DEP_4)
	v_cndmask_b32_e32 v9, v15, v7, vcc_lo
	v_or_b32_e32 v7, 4, v8
	s_delay_alu instid0(VALU_DEP_4) | instskip(SKIP_1) | instid1(VALU_DEP_4)
	v_cndmask_b32_e32 v10, v3, v16, vcc_lo
	v_add_nc_u32_e32 v3, 8, v8
	v_cmp_ge_i32_e32 vcc_lo, v9, v6
	s_barrier_signal -1
	s_barrier_wait -1
	s_delay_alu instid0(VALU_DEP_2) | instskip(SKIP_4) | instid1(SALU_CYCLE_1)
	v_sub_nc_u32_e32 v6, v3, v7
	v_cmp_lt_i32_e64 s1, v10, v5
	s_or_b32 s0, vcc_lo, s0
	v_sub_nc_u32_e32 v10, v7, v8
	s_and_b32 vcc_lo, s1, s0
	v_dual_cndmask_b32 v11, v11, v14, vcc_lo :: v_dual_bitop2_b32 v5, 6, v4 bitop3:0x40
	s_mov_b32 s1, 0
	s_mov_b32 s0, exec_lo
	ds_store_b16 v2, v17
	ds_store_b16 v2, v11 offset:2
	v_sub_nc_u32_e32 v9, v5, v6
	v_cmp_ge_i32_e32 vcc_lo, v5, v6
	v_dual_lshlrev_b32 v6, 1, v8 :: v_dual_min_i32 v10, v5, v10
	s_wait_dscnt 0x0
	s_barrier_signal -1
	v_cndmask_b32_e32 v9, 0, v9, vcc_lo
	s_barrier_wait -1
	s_delay_alu instid0(VALU_DEP_1)
	v_cmpx_lt_i32_e64 v9, v10
	s_cbranch_execz .LBB4_12
; %bb.9:
	v_lshlrev_b32_e32 v11, 1, v5
	s_delay_alu instid0(VALU_DEP_1)
	v_lshl_add_u32 v11, v7, 1, v11
.LBB4_10:                               ; =>This Inner Loop Header: Depth=1
	v_sub_nc_u32_e32 v12, v10, v9
	s_delay_alu instid0(VALU_DEP_1) | instskip(NEXT) | instid1(VALU_DEP_1)
	v_lshrrev_b32_e32 v12, 1, v12
	v_add_nc_u32_e32 v12, v12, v9
	s_delay_alu instid0(VALU_DEP_1) | instskip(SKIP_1) | instid1(VALU_DEP_2)
	v_not_b32_e32 v13, v12
	v_lshl_add_u32 v14, v12, 1, v6
	v_lshl_add_u32 v13, v13, 1, v11
	ds_load_u16 v14, v14
	ds_load_u16 v13, v13
	s_wait_dscnt 0x0
	v_dual_lshlrev_b32 v14, 16, v14 :: v_dual_lshlrev_b32 v13, 16, v13
	s_delay_alu instid0(VALU_DEP_1) | instskip(SKIP_1) | instid1(VALU_DEP_1)
	v_cmp_lt_f32_e32 vcc_lo, v14, v13
	v_add_nc_u32_e32 v15, 1, v12
	v_dual_cndmask_b32 v9, v15, v9 :: v_dual_cndmask_b32 v10, v10, v12
	s_delay_alu instid0(VALU_DEP_1) | instskip(SKIP_1) | instid1(SALU_CYCLE_1)
	v_cmp_ge_i32_e32 vcc_lo, v9, v10
	s_or_b32 s1, vcc_lo, s1
	s_and_not1_b32 exec_lo, exec_lo, s1
	s_cbranch_execnz .LBB4_10
; %bb.11:
	s_or_b32 exec_lo, exec_lo, s1
.LBB4_12:
	s_delay_alu instid0(SALU_CYCLE_1) | instskip(SKIP_2) | instid1(VALU_DEP_2)
	s_or_b32 exec_lo, exec_lo, s0
	v_add_nc_u32_e32 v5, v7, v5
	v_lshl_add_u32 v14, v9, 1, v6
                                        ; implicit-def: $vgpr11
	v_sub_nc_u32_e32 v5, v5, v9
	s_delay_alu instid0(VALU_DEP_1) | instskip(NEXT) | instid1(VALU_DEP_1)
	v_dual_add_nc_u32 v9, v9, v8 :: v_dual_lshlrev_b32 v15, 1, v5
	v_cmp_le_i32_e32 vcc_lo, v7, v9
	ds_load_u16 v6, v14
	ds_load_u16 v10, v15
	s_wait_dscnt 0x1
	v_lshlrev_b32_e32 v12, 16, v6
	s_wait_dscnt 0x0
	v_lshlrev_b32_e32 v13, 16, v10
	v_cmp_gt_i32_e64 s1, v3, v5
	s_delay_alu instid0(VALU_DEP_2) | instskip(SKIP_1) | instid1(SALU_CYCLE_1)
	v_cmp_lt_f32_e64 s0, v12, v13
	s_or_b32 s0, vcc_lo, s0
	s_and_b32 vcc_lo, s1, s0
	s_delay_alu instid0(SALU_CYCLE_1) | instskip(NEXT) | instid1(SALU_CYCLE_1)
	s_xor_b32 s0, vcc_lo, -1
	s_and_saveexec_b32 s1, s0
	s_delay_alu instid0(SALU_CYCLE_1)
	s_xor_b32 s0, exec_lo, s1
	s_cbranch_execz .LBB4_14
; %bb.13:
	ds_load_u16 v11, v14 offset:2
                                        ; implicit-def: $vgpr15
	s_wait_dscnt 0x0
	v_lshlrev_b32_e32 v12, 16, v11
.LBB4_14:
	s_or_saveexec_b32 s0, s0
	v_mov_b32_e32 v14, v10
	s_xor_b32 exec_lo, exec_lo, s0
	s_cbranch_execz .LBB4_16
; %bb.15:
	ds_load_u16 v14, v15 offset:2
	s_wait_dscnt 0x0
	v_dual_mov_b32 v11, v6 :: v_dual_lshlrev_b32 v13, 16, v14
.LBB4_16:
	s_or_b32 exec_lo, exec_lo, s0
	v_dual_add_nc_u32 v15, 1, v9 :: v_dual_cndmask_b32 v17, v6, v10, vcc_lo
	v_and_b32_e32 v8, 0x70, v4
	v_add_nc_u32_e32 v16, 1, v5
	v_cmp_lt_f32_e64 s0, v12, v13
	s_barrier_signal -1
	s_delay_alu instid0(VALU_DEP_3) | instskip(NEXT) | instid1(VALU_DEP_3)
	v_dual_cndmask_b32 v9, v15, v9, vcc_lo :: v_dual_bitop2_b32 v6, 8, v8 bitop3:0x54
	v_cndmask_b32_e32 v10, v5, v16, vcc_lo
	s_barrier_wait -1
	s_delay_alu instid0(VALU_DEP_2) | instskip(NEXT) | instid1(VALU_DEP_2)
	v_cmp_ge_i32_e32 vcc_lo, v9, v7
	v_cmp_lt_i32_e64 s1, v10, v3
	v_sub_nc_u32_e32 v10, v6, v8
	s_or_b32 s0, vcc_lo, s0
	s_delay_alu instid0(SALU_CYCLE_1) | instskip(NEXT) | instid1(SALU_CYCLE_1)
	s_and_b32 vcc_lo, s1, s0
	v_dual_add_nc_u32 v5, 16, v8 :: v_dual_cndmask_b32 v11, v11, v14, vcc_lo
	v_and_b32_e32 v3, 14, v4
	s_mov_b32 s1, 0
	s_mov_b32 s0, exec_lo
	s_delay_alu instid0(VALU_DEP_2)
	v_sub_nc_u32_e32 v7, v5, v6
	ds_store_b16 v2, v17
	ds_store_b16 v2, v11 offset:2
	s_wait_dscnt 0x0
	s_barrier_signal -1
	s_barrier_wait -1
	v_sub_nc_u32_e32 v9, v3, v7
	v_cmp_ge_i32_e32 vcc_lo, v3, v7
	v_dual_lshlrev_b32 v7, 1, v8 :: v_dual_min_i32 v10, v3, v10
	s_delay_alu instid0(VALU_DEP_3) | instskip(NEXT) | instid1(VALU_DEP_1)
	v_cndmask_b32_e32 v9, 0, v9, vcc_lo
	v_cmpx_lt_i32_e64 v9, v10
	s_cbranch_execz .LBB4_20
; %bb.17:
	v_lshlrev_b32_e32 v11, 1, v3
	s_delay_alu instid0(VALU_DEP_1)
	v_lshl_add_u32 v11, v6, 1, v11
.LBB4_18:                               ; =>This Inner Loop Header: Depth=1
	v_sub_nc_u32_e32 v12, v10, v9
	s_delay_alu instid0(VALU_DEP_1) | instskip(NEXT) | instid1(VALU_DEP_1)
	v_lshrrev_b32_e32 v12, 1, v12
	v_add_nc_u32_e32 v12, v12, v9
	s_delay_alu instid0(VALU_DEP_1) | instskip(SKIP_1) | instid1(VALU_DEP_2)
	v_not_b32_e32 v13, v12
	v_lshl_add_u32 v14, v12, 1, v7
	v_lshl_add_u32 v13, v13, 1, v11
	ds_load_u16 v14, v14
	ds_load_u16 v13, v13
	s_wait_dscnt 0x0
	v_dual_lshlrev_b32 v14, 16, v14 :: v_dual_lshlrev_b32 v13, 16, v13
	s_delay_alu instid0(VALU_DEP_1) | instskip(SKIP_1) | instid1(VALU_DEP_1)
	v_cmp_lt_f32_e32 vcc_lo, v14, v13
	v_add_nc_u32_e32 v15, 1, v12
	v_dual_cndmask_b32 v9, v15, v9 :: v_dual_cndmask_b32 v10, v10, v12
	s_delay_alu instid0(VALU_DEP_1) | instskip(SKIP_1) | instid1(SALU_CYCLE_1)
	v_cmp_ge_i32_e32 vcc_lo, v9, v10
	s_or_b32 s1, vcc_lo, s1
	s_and_not1_b32 exec_lo, exec_lo, s1
	s_cbranch_execnz .LBB4_18
; %bb.19:
	s_or_b32 exec_lo, exec_lo, s1
.LBB4_20:
	s_delay_alu instid0(SALU_CYCLE_1) | instskip(SKIP_2) | instid1(VALU_DEP_2)
	s_or_b32 exec_lo, exec_lo, s0
	v_add_nc_u32_e32 v3, v6, v3
	v_lshl_add_u32 v14, v9, 1, v7
                                        ; implicit-def: $vgpr11
	v_dual_sub_nc_u32 v3, v3, v9 :: v_dual_add_nc_u32 v9, v9, v8
	s_delay_alu instid0(VALU_DEP_1) | instskip(NEXT) | instid1(VALU_DEP_2)
	v_lshlrev_b32_e32 v15, 1, v3
	v_cmp_le_i32_e32 vcc_lo, v6, v9
	ds_load_u16 v7, v14
	ds_load_u16 v10, v15
	s_wait_dscnt 0x0
	v_dual_lshlrev_b32 v12, 16, v7 :: v_dual_lshlrev_b32 v13, 16, v10
	v_cmp_gt_i32_e64 s1, v5, v3
	s_delay_alu instid0(VALU_DEP_2) | instskip(SKIP_1) | instid1(SALU_CYCLE_1)
	v_cmp_lt_f32_e64 s0, v12, v13
	s_or_b32 s0, vcc_lo, s0
	s_and_b32 vcc_lo, s1, s0
	s_delay_alu instid0(SALU_CYCLE_1) | instskip(NEXT) | instid1(SALU_CYCLE_1)
	s_xor_b32 s0, vcc_lo, -1
	s_and_saveexec_b32 s1, s0
	s_delay_alu instid0(SALU_CYCLE_1)
	s_xor_b32 s0, exec_lo, s1
	s_cbranch_execz .LBB4_22
; %bb.21:
	ds_load_u16 v11, v14 offset:2
                                        ; implicit-def: $vgpr15
	s_wait_dscnt 0x0
	v_lshlrev_b32_e32 v12, 16, v11
.LBB4_22:
	s_or_saveexec_b32 s0, s0
	v_mov_b32_e32 v14, v10
	s_xor_b32 exec_lo, exec_lo, s0
	s_cbranch_execz .LBB4_24
; %bb.23:
	ds_load_u16 v14, v15 offset:2
	s_wait_dscnt 0x0
	v_dual_mov_b32 v11, v7 :: v_dual_lshlrev_b32 v13, 16, v14
.LBB4_24:
	s_or_b32 exec_lo, exec_lo, s0
	v_dual_add_nc_u32 v15, 1, v9 :: v_dual_add_nc_u32 v16, 1, v3
	v_and_b32_e32 v8, 0x60, v4
	v_cndmask_b32_e32 v17, v7, v10, vcc_lo
	v_cmp_lt_f32_e64 s0, v12, v13
	s_delay_alu instid0(VALU_DEP_4) | instskip(NEXT) | instid1(VALU_DEP_4)
	v_cndmask_b32_e32 v9, v15, v9, vcc_lo
	v_or_b32_e32 v7, 16, v8
	v_cndmask_b32_e32 v10, v3, v16, vcc_lo
	v_add_nc_u32_e32 v3, 32, v8
	s_delay_alu instid0(VALU_DEP_4) | instskip(SKIP_2) | instid1(VALU_DEP_2)
	v_cmp_ge_i32_e32 vcc_lo, v9, v6
	s_barrier_signal -1
	s_barrier_wait -1
	v_sub_nc_u32_e32 v6, v3, v7
	v_cmp_lt_i32_e64 s1, v10, v5
	s_or_b32 s0, vcc_lo, s0
	v_sub_nc_u32_e32 v10, v7, v8
	s_and_b32 vcc_lo, s1, s0
	s_delay_alu instid0(SALU_CYCLE_1)
	v_dual_cndmask_b32 v11, v11, v14, vcc_lo :: v_dual_bitop2_b32 v5, 30, v4 bitop3:0x40
	s_mov_b32 s1, 0
	s_mov_b32 s0, exec_lo
	ds_store_b16 v2, v17
	ds_store_b16 v2, v11 offset:2
	v_sub_nc_u32_e32 v9, v5, v6
	v_cmp_ge_i32_e32 vcc_lo, v5, v6
	v_dual_lshlrev_b32 v6, 1, v8 :: v_dual_min_i32 v10, v5, v10
	s_wait_dscnt 0x0
	s_barrier_signal -1
	v_cndmask_b32_e32 v9, 0, v9, vcc_lo
	s_barrier_wait -1
	s_delay_alu instid0(VALU_DEP_1)
	v_cmpx_lt_i32_e64 v9, v10
	s_cbranch_execz .LBB4_28
; %bb.25:
	v_lshlrev_b32_e32 v11, 1, v5
	s_delay_alu instid0(VALU_DEP_1)
	v_lshl_add_u32 v11, v7, 1, v11
.LBB4_26:                               ; =>This Inner Loop Header: Depth=1
	v_sub_nc_u32_e32 v12, v10, v9
	s_delay_alu instid0(VALU_DEP_1) | instskip(NEXT) | instid1(VALU_DEP_1)
	v_lshrrev_b32_e32 v12, 1, v12
	v_add_nc_u32_e32 v12, v12, v9
	s_delay_alu instid0(VALU_DEP_1) | instskip(SKIP_1) | instid1(VALU_DEP_2)
	v_not_b32_e32 v13, v12
	v_lshl_add_u32 v14, v12, 1, v6
	v_lshl_add_u32 v13, v13, 1, v11
	ds_load_u16 v14, v14
	ds_load_u16 v13, v13
	s_wait_dscnt 0x0
	v_dual_lshlrev_b32 v14, 16, v14 :: v_dual_lshlrev_b32 v13, 16, v13
	s_delay_alu instid0(VALU_DEP_1) | instskip(SKIP_1) | instid1(VALU_DEP_1)
	v_cmp_lt_f32_e32 vcc_lo, v14, v13
	v_add_nc_u32_e32 v15, 1, v12
	v_dual_cndmask_b32 v9, v15, v9 :: v_dual_cndmask_b32 v10, v10, v12
	s_delay_alu instid0(VALU_DEP_1) | instskip(SKIP_1) | instid1(SALU_CYCLE_1)
	v_cmp_ge_i32_e32 vcc_lo, v9, v10
	s_or_b32 s1, vcc_lo, s1
	s_and_not1_b32 exec_lo, exec_lo, s1
	s_cbranch_execnz .LBB4_26
; %bb.27:
	s_or_b32 exec_lo, exec_lo, s1
.LBB4_28:
	s_delay_alu instid0(SALU_CYCLE_1) | instskip(SKIP_2) | instid1(VALU_DEP_2)
	s_or_b32 exec_lo, exec_lo, s0
	v_add_nc_u32_e32 v5, v7, v5
	v_lshl_add_u32 v14, v9, 1, v6
                                        ; implicit-def: $vgpr11
	v_sub_nc_u32_e32 v5, v5, v9
	s_delay_alu instid0(VALU_DEP_1) | instskip(NEXT) | instid1(VALU_DEP_1)
	v_dual_add_nc_u32 v9, v9, v8 :: v_dual_lshlrev_b32 v15, 1, v5
	v_cmp_le_i32_e32 vcc_lo, v7, v9
	ds_load_u16 v6, v14
	ds_load_u16 v10, v15
	s_wait_dscnt 0x1
	v_lshlrev_b32_e32 v12, 16, v6
	s_wait_dscnt 0x0
	v_lshlrev_b32_e32 v13, 16, v10
	v_cmp_gt_i32_e64 s1, v3, v5
	s_delay_alu instid0(VALU_DEP_2) | instskip(SKIP_1) | instid1(SALU_CYCLE_1)
	v_cmp_lt_f32_e64 s0, v12, v13
	s_or_b32 s0, vcc_lo, s0
	s_and_b32 vcc_lo, s1, s0
	s_delay_alu instid0(SALU_CYCLE_1) | instskip(NEXT) | instid1(SALU_CYCLE_1)
	s_xor_b32 s0, vcc_lo, -1
	s_and_saveexec_b32 s1, s0
	s_delay_alu instid0(SALU_CYCLE_1)
	s_xor_b32 s0, exec_lo, s1
	s_cbranch_execz .LBB4_30
; %bb.29:
	ds_load_u16 v11, v14 offset:2
                                        ; implicit-def: $vgpr15
	s_wait_dscnt 0x0
	v_lshlrev_b32_e32 v12, 16, v11
.LBB4_30:
	s_or_saveexec_b32 s0, s0
	v_mov_b32_e32 v14, v10
	s_xor_b32 exec_lo, exec_lo, s0
	s_cbranch_execz .LBB4_32
; %bb.31:
	ds_load_u16 v14, v15 offset:2
	s_wait_dscnt 0x0
	v_dual_mov_b32 v11, v6 :: v_dual_lshlrev_b32 v13, 16, v14
.LBB4_32:
	s_or_b32 exec_lo, exec_lo, s0
	v_dual_add_nc_u32 v15, 1, v9 :: v_dual_bitop2_b32 v8, 64, v4 bitop3:0x40
	v_dual_cndmask_b32 v17, v6, v10 :: v_dual_add_nc_u32 v16, 1, v5
	s_delay_alu instid0(VALU_DEP_3) | instskip(NEXT) | instid1(VALU_DEP_3)
	v_cmp_lt_f32_e64 s0, v12, v13
	v_dual_cndmask_b32 v9, v15, v9, vcc_lo :: v_dual_bitop2_b32 v6, 32, v8 bitop3:0x54
	s_delay_alu instid0(VALU_DEP_3) | instskip(SKIP_1) | instid1(VALU_DEP_3)
	v_cndmask_b32_e32 v10, v5, v16, vcc_lo
	v_add_nc_u32_e32 v5, 64, v8
	v_cmp_ge_i32_e32 vcc_lo, v9, v7
	s_barrier_signal -1
	s_delay_alu instid0(VALU_DEP_3) | instskip(NEXT) | instid1(VALU_DEP_3)
	v_cmp_lt_i32_e64 s1, v10, v3
	v_dual_sub_nc_u32 v7, v5, v6 :: v_dual_bitop2_b32 v3, 62, v4 bitop3:0x40
	s_or_b32 s0, vcc_lo, s0
	s_barrier_wait -1
	s_and_b32 vcc_lo, s1, s0
	s_delay_alu instid0(SALU_CYCLE_1)
	v_dual_cndmask_b32 v9, v11, v14, vcc_lo :: v_dual_sub_nc_u32 v11, v6, v8
	v_sub_nc_u32_e32 v10, v3, v7
	v_cmp_ge_i32_e32 vcc_lo, v3, v7
	ds_store_b16 v2, v17
	ds_store_b16 v2, v9 offset:2
	v_lshlrev_b32_e32 v9, 1, v8
	s_mov_b32 s1, 0
	s_mov_b32 s0, exec_lo
	v_dual_cndmask_b32 v7, 0, v10 :: v_dual_min_i32 v10, v3, v11
	s_wait_dscnt 0x0
	s_barrier_signal -1
	s_barrier_wait -1
	s_delay_alu instid0(VALU_DEP_1)
	v_cmpx_lt_i32_e64 v7, v10
	s_cbranch_execz .LBB4_36
; %bb.33:
	v_lshlrev_b32_e32 v11, 1, v3
	s_delay_alu instid0(VALU_DEP_1)
	v_lshl_add_u32 v11, v6, 1, v11
.LBB4_34:                               ; =>This Inner Loop Header: Depth=1
	v_sub_nc_u32_e32 v12, v10, v7
	s_delay_alu instid0(VALU_DEP_1) | instskip(NEXT) | instid1(VALU_DEP_1)
	v_lshrrev_b32_e32 v12, 1, v12
	v_add_nc_u32_e32 v12, v12, v7
	s_delay_alu instid0(VALU_DEP_1) | instskip(SKIP_1) | instid1(VALU_DEP_2)
	v_not_b32_e32 v13, v12
	v_lshl_add_u32 v14, v12, 1, v9
	v_lshl_add_u32 v13, v13, 1, v11
	ds_load_u16 v14, v14
	ds_load_u16 v13, v13
	s_wait_dscnt 0x0
	v_dual_lshlrev_b32 v14, 16, v14 :: v_dual_lshlrev_b32 v13, 16, v13
	s_delay_alu instid0(VALU_DEP_1) | instskip(SKIP_1) | instid1(VALU_DEP_1)
	v_cmp_lt_f32_e32 vcc_lo, v14, v13
	v_add_nc_u32_e32 v15, 1, v12
	v_dual_cndmask_b32 v7, v15, v7 :: v_dual_cndmask_b32 v10, v10, v12
	s_delay_alu instid0(VALU_DEP_1) | instskip(SKIP_1) | instid1(SALU_CYCLE_1)
	v_cmp_ge_i32_e32 vcc_lo, v7, v10
	s_or_b32 s1, vcc_lo, s1
	s_and_not1_b32 exec_lo, exec_lo, s1
	s_cbranch_execnz .LBB4_34
; %bb.35:
	s_or_b32 exec_lo, exec_lo, s1
.LBB4_36:
	s_delay_alu instid0(SALU_CYCLE_1) | instskip(SKIP_2) | instid1(VALU_DEP_2)
	s_or_b32 exec_lo, exec_lo, s0
	v_dual_add_nc_u32 v3, v6, v3 :: v_dual_add_nc_u32 v8, v7, v8
	v_lshl_add_u32 v13, v7, 1, v9
	v_sub_nc_u32_e32 v3, v3, v7
	s_delay_alu instid0(VALU_DEP_3) | instskip(NEXT) | instid1(VALU_DEP_2)
	v_cmp_le_i32_e32 vcc_lo, v6, v8
                                        ; implicit-def: $vgpr7
	v_lshlrev_b32_e32 v14, 1, v3
	ds_load_u16 v9, v13
	ds_load_u16 v10, v14
	s_wait_dscnt 0x0
	v_dual_lshlrev_b32 v11, 16, v9 :: v_dual_lshlrev_b32 v12, 16, v10
	v_cmp_gt_i32_e64 s1, v5, v3
	s_delay_alu instid0(VALU_DEP_2) | instskip(SKIP_1) | instid1(SALU_CYCLE_1)
	v_cmp_lt_f32_e64 s0, v11, v12
	s_or_b32 s0, vcc_lo, s0
	s_and_b32 vcc_lo, s1, s0
	s_delay_alu instid0(SALU_CYCLE_1) | instskip(NEXT) | instid1(SALU_CYCLE_1)
	s_xor_b32 s0, vcc_lo, -1
	s_and_saveexec_b32 s1, s0
	s_delay_alu instid0(SALU_CYCLE_1)
	s_xor_b32 s0, exec_lo, s1
	s_cbranch_execz .LBB4_38
; %bb.37:
	ds_load_u16 v7, v13 offset:2
                                        ; implicit-def: $vgpr14
	s_wait_dscnt 0x0
	v_lshlrev_b32_e32 v11, 16, v7
.LBB4_38:
	s_or_saveexec_b32 s0, s0
	v_mov_b32_e32 v13, v10
	s_xor_b32 exec_lo, exec_lo, s0
	s_cbranch_execz .LBB4_40
; %bb.39:
	ds_load_u16 v13, v14 offset:2
	s_wait_dscnt 0x0
	v_dual_mov_b32 v7, v9 :: v_dual_lshlrev_b32 v12, 16, v13
.LBB4_40:
	s_or_b32 exec_lo, exec_lo, s0
	v_dual_add_nc_u32 v14, 1, v8 :: v_dual_add_nc_u32 v15, 1, v3
	v_and_b32_e32 v4, 0x7e, v4
	s_barrier_signal -1
	s_delay_alu instid0(VALU_DEP_2) | instskip(NEXT) | instid1(VALU_DEP_3)
	v_dual_cndmask_b32 v8, v14, v8 :: v_dual_cndmask_b32 v9, v9, v10
	v_cndmask_b32_e32 v3, v3, v15, vcc_lo
	v_cmp_lt_f32_e32 vcc_lo, v11, v12
	s_barrier_wait -1
	s_delay_alu instid0(VALU_DEP_3) | instskip(NEXT) | instid1(VALU_DEP_3)
	v_cmp_ge_i32_e64 s0, v8, v6
	v_cmp_lt_i32_e64 s1, v3, v5
	v_sub_nc_u32_e64 v3, v4, 64 clamp
	v_min_i32_e32 v5, 64, v4
	s_or_b32 s0, s0, vcc_lo
	s_delay_alu instid0(SALU_CYCLE_1)
	s_and_b32 vcc_lo, s1, s0
	s_mov_b32 s0, exec_lo
	v_cndmask_b32_e32 v6, v7, v13, vcc_lo
	ds_store_b16 v2, v9
	ds_store_b16 v2, v6 offset:2
	s_wait_dscnt 0x0
	s_barrier_signal -1
	s_barrier_wait -1
	v_cmpx_lt_i32_e64 v3, v5
	s_cbranch_execz .LBB4_44
; %bb.41:
	v_lshlrev_b32_e32 v2, 1, v4
	s_mov_b32 s1, 0
	s_delay_alu instid0(VALU_DEP_1)
	v_lshl_add_u32 v2, 64, 1, v2
.LBB4_42:                               ; =>This Inner Loop Header: Depth=1
	v_sub_nc_u32_e32 v6, v5, v3
	s_delay_alu instid0(VALU_DEP_1) | instskip(NEXT) | instid1(VALU_DEP_1)
	v_lshrrev_b32_e32 v6, 1, v6
	v_add_nc_u32_e32 v6, v6, v3
	s_delay_alu instid0(VALU_DEP_1) | instskip(SKIP_1) | instid1(VALU_DEP_2)
	v_not_b32_e32 v7, v6
	v_dual_lshlrev_b32 v8, 1, v6 :: v_dual_add_nc_u32 v9, 1, v6
	v_lshl_add_u32 v7, v7, 1, v2
	ds_load_u16 v8, v8
	ds_load_u16 v7, v7
	s_wait_dscnt 0x0
	v_dual_lshlrev_b32 v8, 16, v8 :: v_dual_lshlrev_b32 v7, 16, v7
	s_delay_alu instid0(VALU_DEP_1) | instskip(SKIP_2) | instid1(VALU_DEP_1)
	v_cmp_lt_f32_e32 vcc_lo, v8, v7
	v_cndmask_b32_e32 v3, v9, v3, vcc_lo
	v_cndmask_b32_e32 v5, v5, v6, vcc_lo
	v_cmp_ge_i32_e32 vcc_lo, v3, v5
	s_or_b32 s1, vcc_lo, s1
	s_delay_alu instid0(SALU_CYCLE_1)
	s_and_not1_b32 exec_lo, exec_lo, s1
	s_cbranch_execnz .LBB4_42
; %bb.43:
	s_or_b32 exec_lo, exec_lo, s1
.LBB4_44:
	s_delay_alu instid0(SALU_CYCLE_1) | instskip(SKIP_2) | instid1(VALU_DEP_2)
	s_or_b32 exec_lo, exec_lo, s0
	v_dual_add_nc_u32 v2, 64, v4 :: v_dual_lshlrev_b32 v10, 1, v3
	v_cmp_gt_i32_e32 vcc_lo, 64, v3
                                        ; implicit-def: $vgpr8
	v_sub_nc_u32_e32 v2, v2, v3
	s_delay_alu instid0(VALU_DEP_1)
	v_lshlrev_b32_e32 v9, 1, v2
	ds_load_u16 v6, v10
	ds_load_u16 v4, v9
	s_wait_dscnt 0x0
	v_dual_lshlrev_b32 v5, 16, v6 :: v_dual_lshlrev_b32 v7, 16, v4
	v_cmp_lt_i32_e64 s1, 0x7f, v2
	s_delay_alu instid0(VALU_DEP_2) | instskip(SKIP_1) | instid1(SALU_CYCLE_1)
	v_cmp_nlt_f32_e64 s0, v5, v7
	s_and_b32 s0, vcc_lo, s0
	s_or_b32 s0, s1, s0
	s_delay_alu instid0(SALU_CYCLE_1) | instskip(NEXT) | instid1(SALU_CYCLE_1)
	s_and_saveexec_b32 s1, s0
	s_xor_b32 s0, exec_lo, s1
	s_cbranch_execz .LBB4_46
; %bb.45:
	ds_load_u16 v8, v10 offset:2
	v_add_nc_u32_e32 v3, 1, v3
                                        ; implicit-def: $vgpr9
	s_wait_dscnt 0x0
	v_lshlrev_b32_e32 v5, 16, v8
.LBB4_46:
	s_or_saveexec_b32 s0, s0
	v_mov_b32_e32 v10, v6
	s_xor_b32 exec_lo, exec_lo, s0
	s_cbranch_execz .LBB4_48
; %bb.47:
	ds_load_u16 v9, v9 offset:2
	v_dual_add_nc_u32 v2, 1, v2 :: v_dual_mov_b32 v10, v4
	s_wait_dscnt 0x0
	v_dual_mov_b32 v8, v6 :: v_dual_lshlrev_b32 v7, 16, v9
	v_mov_b32_e32 v4, v9
.LBB4_48:
	s_or_b32 exec_lo, exec_lo, s0
	v_cmp_le_i32_e32 vcc_lo, 64, v3
	s_delay_alu instid0(VALU_DEP_3) | instskip(SKIP_2) | instid1(SALU_CYCLE_1)
	v_cmp_lt_f32_e64 s0, v5, v7
	v_cmp_gt_i32_e64 s1, 0x80, v2
	s_or_b32 s0, vcc_lo, s0
	s_and_b32 vcc_lo, s1, s0
	v_cndmask_b32_e32 v2, v8, v4, vcc_lo
	s_delay_alu instid0(VALU_DEP_1)
	v_perm_b32 v2, v2, v10, 0x5040100
	global_store_b32 v[0:1], v2, off
	s_endpgm
	.section	.rodata,"a",@progbits
	.p2align	6, 0x0
	.amdhsa_kernel _Z15sort_key_kernelILj64ELj2E12hip_bfloat16N10test_utils7greaterEEvPT1_T2_
		.amdhsa_group_segment_fixed_size 258
		.amdhsa_private_segment_fixed_size 0
		.amdhsa_kernarg_size 12
		.amdhsa_user_sgpr_count 2
		.amdhsa_user_sgpr_dispatch_ptr 0
		.amdhsa_user_sgpr_queue_ptr 0
		.amdhsa_user_sgpr_kernarg_segment_ptr 1
		.amdhsa_user_sgpr_dispatch_id 0
		.amdhsa_user_sgpr_kernarg_preload_length 0
		.amdhsa_user_sgpr_kernarg_preload_offset 0
		.amdhsa_user_sgpr_private_segment_size 0
		.amdhsa_wavefront_size32 1
		.amdhsa_uses_dynamic_stack 0
		.amdhsa_enable_private_segment 0
		.amdhsa_system_sgpr_workgroup_id_x 1
		.amdhsa_system_sgpr_workgroup_id_y 0
		.amdhsa_system_sgpr_workgroup_id_z 0
		.amdhsa_system_sgpr_workgroup_info 0
		.amdhsa_system_vgpr_workitem_id 0
		.amdhsa_next_free_vgpr 18
		.amdhsa_next_free_sgpr 6
		.amdhsa_named_barrier_count 0
		.amdhsa_reserve_vcc 1
		.amdhsa_float_round_mode_32 0
		.amdhsa_float_round_mode_16_64 0
		.amdhsa_float_denorm_mode_32 3
		.amdhsa_float_denorm_mode_16_64 3
		.amdhsa_fp16_overflow 0
		.amdhsa_memory_ordered 1
		.amdhsa_forward_progress 1
		.amdhsa_inst_pref_size 25
		.amdhsa_round_robin_scheduling 0
		.amdhsa_exception_fp_ieee_invalid_op 0
		.amdhsa_exception_fp_denorm_src 0
		.amdhsa_exception_fp_ieee_div_zero 0
		.amdhsa_exception_fp_ieee_overflow 0
		.amdhsa_exception_fp_ieee_underflow 0
		.amdhsa_exception_fp_ieee_inexact 0
		.amdhsa_exception_int_div_zero 0
	.end_amdhsa_kernel
	.section	.text._Z15sort_key_kernelILj64ELj2E12hip_bfloat16N10test_utils7greaterEEvPT1_T2_,"axG",@progbits,_Z15sort_key_kernelILj64ELj2E12hip_bfloat16N10test_utils7greaterEEvPT1_T2_,comdat
.Lfunc_end4:
	.size	_Z15sort_key_kernelILj64ELj2E12hip_bfloat16N10test_utils7greaterEEvPT1_T2_, .Lfunc_end4-_Z15sort_key_kernelILj64ELj2E12hip_bfloat16N10test_utils7greaterEEvPT1_T2_
                                        ; -- End function
	.set _Z15sort_key_kernelILj64ELj2E12hip_bfloat16N10test_utils7greaterEEvPT1_T2_.num_vgpr, 18
	.set _Z15sort_key_kernelILj64ELj2E12hip_bfloat16N10test_utils7greaterEEvPT1_T2_.num_agpr, 0
	.set _Z15sort_key_kernelILj64ELj2E12hip_bfloat16N10test_utils7greaterEEvPT1_T2_.numbered_sgpr, 6
	.set _Z15sort_key_kernelILj64ELj2E12hip_bfloat16N10test_utils7greaterEEvPT1_T2_.num_named_barrier, 0
	.set _Z15sort_key_kernelILj64ELj2E12hip_bfloat16N10test_utils7greaterEEvPT1_T2_.private_seg_size, 0
	.set _Z15sort_key_kernelILj64ELj2E12hip_bfloat16N10test_utils7greaterEEvPT1_T2_.uses_vcc, 1
	.set _Z15sort_key_kernelILj64ELj2E12hip_bfloat16N10test_utils7greaterEEvPT1_T2_.uses_flat_scratch, 0
	.set _Z15sort_key_kernelILj64ELj2E12hip_bfloat16N10test_utils7greaterEEvPT1_T2_.has_dyn_sized_stack, 0
	.set _Z15sort_key_kernelILj64ELj2E12hip_bfloat16N10test_utils7greaterEEvPT1_T2_.has_recursion, 0
	.set _Z15sort_key_kernelILj64ELj2E12hip_bfloat16N10test_utils7greaterEEvPT1_T2_.has_indirect_call, 0
	.section	.AMDGPU.csdata,"",@progbits
; Kernel info:
; codeLenInByte = 3156
; TotalNumSgprs: 8
; NumVgprs: 18
; ScratchSize: 0
; MemoryBound: 0
; FloatMode: 240
; IeeeMode: 1
; LDSByteSize: 258 bytes/workgroup (compile time only)
; SGPRBlocks: 0
; VGPRBlocks: 1
; NumSGPRsForWavesPerEU: 8
; NumVGPRsForWavesPerEU: 18
; NamedBarCnt: 0
; Occupancy: 16
; WaveLimiterHint : 0
; COMPUTE_PGM_RSRC2:SCRATCH_EN: 0
; COMPUTE_PGM_RSRC2:USER_SGPR: 2
; COMPUTE_PGM_RSRC2:TRAP_HANDLER: 0
; COMPUTE_PGM_RSRC2:TGID_X_EN: 1
; COMPUTE_PGM_RSRC2:TGID_Y_EN: 0
; COMPUTE_PGM_RSRC2:TGID_Z_EN: 0
; COMPUTE_PGM_RSRC2:TIDIG_COMP_CNT: 0
	.section	.text._Z15sort_key_kernelILj64ELj2E6__halfN10test_utils7greaterEEvPT1_T2_,"axG",@progbits,_Z15sort_key_kernelILj64ELj2E6__halfN10test_utils7greaterEEvPT1_T2_,comdat
	.protected	_Z15sort_key_kernelILj64ELj2E6__halfN10test_utils7greaterEEvPT1_T2_ ; -- Begin function _Z15sort_key_kernelILj64ELj2E6__halfN10test_utils7greaterEEvPT1_T2_
	.globl	_Z15sort_key_kernelILj64ELj2E6__halfN10test_utils7greaterEEvPT1_T2_
	.p2align	8
	.type	_Z15sort_key_kernelILj64ELj2E6__halfN10test_utils7greaterEEvPT1_T2_,@function
_Z15sort_key_kernelILj64ELj2E6__halfN10test_utils7greaterEEvPT1_T2_: ; @_Z15sort_key_kernelILj64ELj2E6__halfN10test_utils7greaterEEvPT1_T2_
; %bb.0:
	s_load_b64 s[2:3], s[0:1], 0x0
	s_wait_xcnt 0x0
	s_bfe_u32 s0, ttmp6, 0x4000c
	s_and_b32 s1, ttmp6, 15
	s_add_co_i32 s0, s0, 1
	s_getreg_b32 s4, hwreg(HW_REG_IB_STS2, 6, 4)
	s_mul_i32 s0, ttmp9, s0
	v_lshlrev_b32_e32 v4, 1, v0
	s_add_co_i32 s1, s1, s0
	s_cmp_eq_u32 s4, 0
	v_mov_b32_e32 v3, 0
	s_cselect_b32 s0, ttmp9, s1
	s_mov_b32 s1, 0
	s_lshl_b32 s0, s0, 7
	v_and_b32_e32 v7, 0x7c, v4
	s_lshl_b64 s[4:5], s[0:1], 1
	s_delay_alu instid0(VALU_DEP_1)
	v_dual_add_nc_u32 v5, 4, v7 :: v_dual_bitop2_b32 v6, 2, v7 bitop3:0x54
	s_wait_kmcnt 0x0
	s_add_nc_u64 s[2:3], s[2:3], s[4:5]
	v_lshlrev_b32_e32 v2, 2, v0
	global_load_b32 v1, v0, s[2:3] scale_offset
	v_dual_lshlrev_b32 v9, 1, v7 :: v_dual_bitop2_b32 v8, 2, v4 bitop3:0x40
	v_sub_nc_u32_e32 v10, v5, v6
	s_wait_loadcnt 0x0
	s_barrier_signal -1
	s_barrier_wait -1
	s_delay_alu instid0(VALU_DEP_1) | instskip(SKIP_2) | instid1(VALU_DEP_1)
	v_cmp_ge_i32_e64 s0, v8, v10
	s_wait_xcnt 0x0
	v_dual_sub_nc_u32 v0, v6, v7 :: v_dual_sub_nc_u32 v12, v8, v10
	v_dual_lshrrev_b32 v11, 16, v1 :: v_dual_min_i32 v0, v8, v0
	s_delay_alu instid0(VALU_DEP_1) | instskip(NEXT) | instid1(VALU_DEP_3)
	v_cmp_lt_f16_e32 vcc_lo, v1, v11
	v_cndmask_b32_e64 v12, 0, v12, s0
	s_mov_b32 s0, exec_lo
	v_dual_cndmask_b32 v10, v1, v11 :: v_dual_cndmask_b32 v1, v11, v1
	ds_store_b16 v2, v10
	ds_store_b16 v2, v1 offset:2
	s_wait_dscnt 0x0
	s_barrier_signal -1
	s_barrier_wait -1
	v_cmpx_lt_i32_e64 v12, v0
	s_cbranch_execz .LBB5_4
; %bb.1:
	v_lshlrev_b32_e32 v1, 1, v8
	s_delay_alu instid0(VALU_DEP_1)
	v_lshl_add_u32 v1, v6, 1, v1
.LBB5_2:                                ; =>This Inner Loop Header: Depth=1
	v_sub_nc_u32_e32 v10, v0, v12
	s_delay_alu instid0(VALU_DEP_1) | instskip(NEXT) | instid1(VALU_DEP_1)
	v_lshrrev_b32_e32 v10, 1, v10
	v_add_nc_u32_e32 v10, v10, v12
	s_delay_alu instid0(VALU_DEP_1) | instskip(SKIP_1) | instid1(VALU_DEP_2)
	v_not_b32_e32 v11, v10
	v_lshl_add_u32 v13, v10, 1, v9
	v_lshl_add_u32 v11, v11, 1, v1
	ds_load_u16 v13, v13
	ds_load_u16 v11, v11
	s_wait_dscnt 0x0
	v_cmp_gt_f16_e32 vcc_lo, v11, v13
	v_dual_add_nc_u32 v14, 1, v10 :: v_dual_cndmask_b32 v0, v0, v10, vcc_lo
	s_delay_alu instid0(VALU_DEP_1) | instskip(NEXT) | instid1(VALU_DEP_1)
	v_cndmask_b32_e32 v12, v14, v12, vcc_lo
	v_cmp_ge_i32_e32 vcc_lo, v12, v0
	s_or_b32 s1, vcc_lo, s1
	s_delay_alu instid0(SALU_CYCLE_1)
	s_and_not1_b32 exec_lo, exec_lo, s1
	s_cbranch_execnz .LBB5_2
; %bb.3:
	s_or_b32 exec_lo, exec_lo, s1
.LBB5_4:
	s_delay_alu instid0(SALU_CYCLE_1) | instskip(SKIP_3) | instid1(VALU_DEP_2)
	s_or_b32 exec_lo, exec_lo, s0
	v_add_nc_u64_e32 v[0:1], s[2:3], v[2:3]
	v_dual_add_nc_u32 v3, v6, v8 :: v_dual_add_nc_u32 v7, v12, v7
	v_lshl_add_u32 v13, v12, 1, v9
	v_sub_nc_u32_e32 v3, v3, v12
	s_delay_alu instid0(VALU_DEP_3) | instskip(NEXT) | instid1(VALU_DEP_2)
	v_cmp_le_i32_e32 vcc_lo, v6, v7
                                        ; implicit-def: $vgpr12
	v_lshlrev_b32_e32 v8, 1, v3
	v_cmp_gt_i32_e64 s1, v5, v3
	ds_load_u16 v10, v13
	ds_load_u16 v11, v8
	s_wait_dscnt 0x0
	v_cmp_gt_f16_e64 s0, v11, v10
	v_mov_b32_e32 v9, v11
	s_or_b32 s0, vcc_lo, s0
	s_delay_alu instid0(SALU_CYCLE_1) | instskip(NEXT) | instid1(SALU_CYCLE_1)
	s_and_b32 vcc_lo, s1, s0
	s_xor_b32 s0, vcc_lo, -1
	s_delay_alu instid0(SALU_CYCLE_1) | instskip(NEXT) | instid1(SALU_CYCLE_1)
	s_and_saveexec_b32 s1, s0
	s_xor_b32 s0, exec_lo, s1
; %bb.5:
	ds_load_u16 v12, v13 offset:2
                                        ; implicit-def: $vgpr8
; %bb.6:
	s_and_not1_saveexec_b32 s0, s0
	s_cbranch_execz .LBB5_8
; %bb.7:
	ds_load_u16 v9, v8 offset:2
	s_wait_dscnt 0x1
	v_mov_b32_e32 v12, v10
.LBB5_8:
	s_or_b32 exec_lo, exec_lo, s0
	v_and_b32_e32 v8, 0x78, v4
	v_add_nc_u32_e32 v13, 1, v7
	v_add_nc_u32_e32 v14, 1, v3
	v_cndmask_b32_e32 v11, v10, v11, vcc_lo
	s_wait_dscnt 0x0
	v_cmp_gt_f16_e64 s0, v9, v12
	s_delay_alu instid0(VALU_DEP_3) | instskip(SKIP_3) | instid1(VALU_DEP_2)
	v_dual_cndmask_b32 v10, v13, v7 :: v_dual_cndmask_b32 v13, v3, v14
	v_dual_add_nc_u32 v3, 8, v8 :: v_dual_bitop2_b32 v7, 4, v8 bitop3:0x54
	s_barrier_signal -1
	s_barrier_wait -1
	v_cmp_lt_i32_e64 s1, v13, v5
	v_and_b32_e32 v5, 6, v4
	v_cmp_ge_i32_e32 vcc_lo, v10, v6
	v_sub_nc_u32_e32 v10, v7, v8
	s_or_b32 s0, vcc_lo, s0
	s_delay_alu instid0(SALU_CYCLE_1) | instskip(NEXT) | instid1(SALU_CYCLE_1)
	s_and_b32 vcc_lo, s1, s0
	v_dual_sub_nc_u32 v6, v3, v7 :: v_dual_cndmask_b32 v12, v12, v9, vcc_lo
	s_mov_b32 s1, 0
	s_mov_b32 s0, exec_lo
	ds_store_b16 v2, v11
	ds_store_b16 v2, v12 offset:2
	v_sub_nc_u32_e32 v9, v5, v6
	v_cmp_ge_i32_e32 vcc_lo, v5, v6
	v_dual_lshlrev_b32 v6, 1, v8 :: v_dual_min_i32 v10, v5, v10
	s_wait_dscnt 0x0
	s_barrier_signal -1
	v_cndmask_b32_e32 v9, 0, v9, vcc_lo
	s_barrier_wait -1
	s_delay_alu instid0(VALU_DEP_1)
	v_cmpx_lt_i32_e64 v9, v10
	s_cbranch_execz .LBB5_12
; %bb.9:
	v_lshlrev_b32_e32 v11, 1, v5
	s_delay_alu instid0(VALU_DEP_1)
	v_lshl_add_u32 v11, v7, 1, v11
.LBB5_10:                               ; =>This Inner Loop Header: Depth=1
	v_sub_nc_u32_e32 v12, v10, v9
	s_delay_alu instid0(VALU_DEP_1) | instskip(NEXT) | instid1(VALU_DEP_1)
	v_lshrrev_b32_e32 v12, 1, v12
	v_add_nc_u32_e32 v12, v12, v9
	s_delay_alu instid0(VALU_DEP_1) | instskip(SKIP_1) | instid1(VALU_DEP_2)
	v_not_b32_e32 v13, v12
	v_lshl_add_u32 v14, v12, 1, v6
	v_lshl_add_u32 v13, v13, 1, v11
	ds_load_u16 v14, v14
	ds_load_u16 v13, v13
	s_wait_dscnt 0x0
	v_cmp_gt_f16_e32 vcc_lo, v13, v14
	v_dual_cndmask_b32 v10, v10, v12 :: v_dual_add_nc_u32 v15, 1, v12
	s_delay_alu instid0(VALU_DEP_1) | instskip(NEXT) | instid1(VALU_DEP_1)
	v_cndmask_b32_e32 v9, v15, v9, vcc_lo
	v_cmp_ge_i32_e32 vcc_lo, v9, v10
	s_or_b32 s1, vcc_lo, s1
	s_delay_alu instid0(SALU_CYCLE_1)
	s_and_not1_b32 exec_lo, exec_lo, s1
	s_cbranch_execnz .LBB5_10
; %bb.11:
	s_or_b32 exec_lo, exec_lo, s1
.LBB5_12:
	s_delay_alu instid0(SALU_CYCLE_1) | instskip(SKIP_2) | instid1(VALU_DEP_2)
	s_or_b32 exec_lo, exec_lo, s0
	v_dual_add_nc_u32 v5, v7, v5 :: v_dual_add_nc_u32 v10, v9, v8
	v_lshl_add_u32 v14, v9, 1, v6
                                        ; implicit-def: $vgpr12
	v_sub_nc_u32_e32 v5, v5, v9
	s_delay_alu instid0(VALU_DEP_3) | instskip(NEXT) | instid1(VALU_DEP_2)
	v_cmp_le_i32_e32 vcc_lo, v7, v10
	v_lshlrev_b32_e32 v13, 1, v5
	ds_load_u16 v6, v14
	ds_load_u16 v11, v13
	s_wait_dscnt 0x0
	v_cmp_gt_f16_e64 s0, v11, v6
	v_mov_b32_e32 v9, v11
	v_cmp_gt_i32_e64 s1, v3, v5
	s_or_b32 s0, vcc_lo, s0
	s_delay_alu instid0(SALU_CYCLE_1) | instskip(NEXT) | instid1(SALU_CYCLE_1)
	s_and_b32 vcc_lo, s1, s0
	s_xor_b32 s0, vcc_lo, -1
	s_delay_alu instid0(SALU_CYCLE_1) | instskip(NEXT) | instid1(SALU_CYCLE_1)
	s_and_saveexec_b32 s1, s0
	s_xor_b32 s0, exec_lo, s1
; %bb.13:
	ds_load_u16 v12, v14 offset:2
                                        ; implicit-def: $vgpr13
; %bb.14:
	s_and_not1_saveexec_b32 s0, s0
	s_cbranch_execz .LBB5_16
; %bb.15:
	ds_load_u16 v9, v13 offset:2
	s_wait_dscnt 0x1
	v_mov_b32_e32 v12, v6
.LBB5_16:
	s_or_b32 exec_lo, exec_lo, s0
	v_dual_add_nc_u32 v13, 1, v10 :: v_dual_add_nc_u32 v14, 1, v5
	v_cndmask_b32_e32 v11, v6, v11, vcc_lo
	v_and_b32_e32 v8, 0x70, v4
	s_wait_dscnt 0x0
	v_cmp_gt_f16_e64 s0, v9, v12
	v_cndmask_b32_e32 v10, v13, v10, vcc_lo
	v_cndmask_b32_e32 v13, v5, v14, vcc_lo
	v_or_b32_e32 v6, 8, v8
	s_barrier_signal -1
	s_delay_alu instid0(VALU_DEP_3) | instskip(NEXT) | instid1(VALU_DEP_3)
	v_cmp_ge_i32_e32 vcc_lo, v10, v7
	v_cmp_lt_i32_e64 s1, v13, v3
	s_barrier_wait -1
	v_sub_nc_u32_e32 v10, v6, v8
	s_or_b32 s0, vcc_lo, s0
	s_delay_alu instid0(SALU_CYCLE_1) | instskip(SKIP_4) | instid1(VALU_DEP_2)
	s_and_b32 vcc_lo, s1, s0
	v_dual_cndmask_b32 v12, v12, v9 :: v_dual_add_nc_u32 v5, 16, v8
	v_and_b32_e32 v3, 14, v4
	s_mov_b32 s1, 0
	s_mov_b32 s0, exec_lo
	v_sub_nc_u32_e32 v7, v5, v6
	ds_store_b16 v2, v11
	ds_store_b16 v2, v12 offset:2
	s_wait_dscnt 0x0
	s_barrier_signal -1
	s_barrier_wait -1
	v_sub_nc_u32_e32 v9, v3, v7
	v_cmp_ge_i32_e32 vcc_lo, v3, v7
	v_lshlrev_b32_e32 v7, 1, v8
	s_delay_alu instid0(VALU_DEP_3) | instskip(NEXT) | instid1(VALU_DEP_1)
	v_dual_cndmask_b32 v9, 0, v9 :: v_dual_min_i32 v10, v3, v10
	v_cmpx_lt_i32_e64 v9, v10
	s_cbranch_execz .LBB5_20
; %bb.17:
	v_lshlrev_b32_e32 v11, 1, v3
	s_delay_alu instid0(VALU_DEP_1)
	v_lshl_add_u32 v11, v6, 1, v11
.LBB5_18:                               ; =>This Inner Loop Header: Depth=1
	v_sub_nc_u32_e32 v12, v10, v9
	s_delay_alu instid0(VALU_DEP_1) | instskip(NEXT) | instid1(VALU_DEP_1)
	v_lshrrev_b32_e32 v12, 1, v12
	v_add_nc_u32_e32 v12, v12, v9
	s_delay_alu instid0(VALU_DEP_1) | instskip(SKIP_1) | instid1(VALU_DEP_2)
	v_not_b32_e32 v13, v12
	v_lshl_add_u32 v14, v12, 1, v7
	v_lshl_add_u32 v13, v13, 1, v11
	ds_load_u16 v14, v14
	ds_load_u16 v13, v13
	s_wait_dscnt 0x0
	v_cmp_gt_f16_e32 vcc_lo, v13, v14
	v_dual_cndmask_b32 v10, v10, v12 :: v_dual_add_nc_u32 v15, 1, v12
	s_delay_alu instid0(VALU_DEP_1) | instskip(NEXT) | instid1(VALU_DEP_1)
	v_cndmask_b32_e32 v9, v15, v9, vcc_lo
	v_cmp_ge_i32_e32 vcc_lo, v9, v10
	s_or_b32 s1, vcc_lo, s1
	s_delay_alu instid0(SALU_CYCLE_1)
	s_and_not1_b32 exec_lo, exec_lo, s1
	s_cbranch_execnz .LBB5_18
; %bb.19:
	s_or_b32 exec_lo, exec_lo, s1
.LBB5_20:
	s_delay_alu instid0(SALU_CYCLE_1) | instskip(SKIP_2) | instid1(VALU_DEP_2)
	s_or_b32 exec_lo, exec_lo, s0
	v_dual_add_nc_u32 v3, v6, v3 :: v_dual_add_nc_u32 v10, v9, v8
	v_lshl_add_u32 v14, v9, 1, v7
                                        ; implicit-def: $vgpr12
	v_sub_nc_u32_e32 v3, v3, v9
	s_delay_alu instid0(VALU_DEP_3) | instskip(NEXT) | instid1(VALU_DEP_2)
	v_cmp_le_i32_e32 vcc_lo, v6, v10
	v_lshlrev_b32_e32 v13, 1, v3
	v_cmp_gt_i32_e64 s1, v5, v3
	ds_load_u16 v7, v14
	ds_load_u16 v11, v13
	s_wait_dscnt 0x0
	v_cmp_gt_f16_e64 s0, v11, v7
	v_mov_b32_e32 v9, v11
	s_or_b32 s0, vcc_lo, s0
	s_delay_alu instid0(SALU_CYCLE_1) | instskip(NEXT) | instid1(SALU_CYCLE_1)
	s_and_b32 vcc_lo, s1, s0
	s_xor_b32 s0, vcc_lo, -1
	s_delay_alu instid0(SALU_CYCLE_1) | instskip(NEXT) | instid1(SALU_CYCLE_1)
	s_and_saveexec_b32 s1, s0
	s_xor_b32 s0, exec_lo, s1
; %bb.21:
	ds_load_u16 v12, v14 offset:2
                                        ; implicit-def: $vgpr13
; %bb.22:
	s_and_not1_saveexec_b32 s0, s0
	s_cbranch_execz .LBB5_24
; %bb.23:
	ds_load_u16 v9, v13 offset:2
	s_wait_dscnt 0x1
	v_mov_b32_e32 v12, v7
.LBB5_24:
	s_or_b32 exec_lo, exec_lo, s0
	v_dual_add_nc_u32 v13, 1, v10 :: v_dual_add_nc_u32 v14, 1, v3
	v_cndmask_b32_e32 v11, v7, v11, vcc_lo
	v_and_b32_e32 v8, 0x60, v4
	s_wait_dscnt 0x0
	v_cmp_gt_f16_e64 s0, v9, v12
	v_cndmask_b32_e32 v10, v13, v10, vcc_lo
	v_cndmask_b32_e32 v13, v3, v14, vcc_lo
	v_or_b32_e32 v7, 16, v8
	s_barrier_signal -1
	s_delay_alu instid0(VALU_DEP_3) | instskip(NEXT) | instid1(VALU_DEP_3)
	v_cmp_ge_i32_e32 vcc_lo, v10, v6
	v_cmp_lt_i32_e64 s1, v13, v5
	s_barrier_wait -1
	v_sub_nc_u32_e32 v10, v7, v8
	s_or_b32 s0, vcc_lo, s0
	s_delay_alu instid0(SALU_CYCLE_1) | instskip(SKIP_4) | instid1(VALU_DEP_2)
	s_and_b32 vcc_lo, s1, s0
	v_dual_cndmask_b32 v12, v12, v9 :: v_dual_add_nc_u32 v3, 32, v8
	v_and_b32_e32 v5, 30, v4
	s_mov_b32 s1, 0
	s_mov_b32 s0, exec_lo
	v_sub_nc_u32_e32 v6, v3, v7
	ds_store_b16 v2, v11
	ds_store_b16 v2, v12 offset:2
	s_wait_dscnt 0x0
	s_barrier_signal -1
	s_barrier_wait -1
	v_sub_nc_u32_e32 v9, v5, v6
	v_cmp_ge_i32_e32 vcc_lo, v5, v6
	v_lshlrev_b32_e32 v6, 1, v8
	s_delay_alu instid0(VALU_DEP_3) | instskip(NEXT) | instid1(VALU_DEP_1)
	v_dual_cndmask_b32 v9, 0, v9 :: v_dual_min_i32 v10, v5, v10
	v_cmpx_lt_i32_e64 v9, v10
	s_cbranch_execz .LBB5_28
; %bb.25:
	v_lshlrev_b32_e32 v11, 1, v5
	s_delay_alu instid0(VALU_DEP_1)
	v_lshl_add_u32 v11, v7, 1, v11
.LBB5_26:                               ; =>This Inner Loop Header: Depth=1
	v_sub_nc_u32_e32 v12, v10, v9
	s_delay_alu instid0(VALU_DEP_1) | instskip(NEXT) | instid1(VALU_DEP_1)
	v_lshrrev_b32_e32 v12, 1, v12
	v_add_nc_u32_e32 v12, v12, v9
	s_delay_alu instid0(VALU_DEP_1) | instskip(SKIP_1) | instid1(VALU_DEP_2)
	v_not_b32_e32 v13, v12
	v_lshl_add_u32 v14, v12, 1, v6
	v_lshl_add_u32 v13, v13, 1, v11
	ds_load_u16 v14, v14
	ds_load_u16 v13, v13
	s_wait_dscnt 0x0
	v_cmp_gt_f16_e32 vcc_lo, v13, v14
	v_dual_cndmask_b32 v10, v10, v12 :: v_dual_add_nc_u32 v15, 1, v12
	s_delay_alu instid0(VALU_DEP_1) | instskip(NEXT) | instid1(VALU_DEP_1)
	v_cndmask_b32_e32 v9, v15, v9, vcc_lo
	v_cmp_ge_i32_e32 vcc_lo, v9, v10
	s_or_b32 s1, vcc_lo, s1
	s_delay_alu instid0(SALU_CYCLE_1)
	s_and_not1_b32 exec_lo, exec_lo, s1
	s_cbranch_execnz .LBB5_26
; %bb.27:
	s_or_b32 exec_lo, exec_lo, s1
.LBB5_28:
	s_delay_alu instid0(SALU_CYCLE_1) | instskip(SKIP_2) | instid1(VALU_DEP_2)
	s_or_b32 exec_lo, exec_lo, s0
	v_dual_add_nc_u32 v5, v7, v5 :: v_dual_add_nc_u32 v10, v9, v8
	v_lshl_add_u32 v14, v9, 1, v6
                                        ; implicit-def: $vgpr12
	v_sub_nc_u32_e32 v5, v5, v9
	s_delay_alu instid0(VALU_DEP_3) | instskip(NEXT) | instid1(VALU_DEP_2)
	v_cmp_le_i32_e32 vcc_lo, v7, v10
	v_lshlrev_b32_e32 v13, 1, v5
	ds_load_u16 v6, v14
	ds_load_u16 v11, v13
	s_wait_dscnt 0x0
	v_cmp_gt_f16_e64 s0, v11, v6
	v_mov_b32_e32 v9, v11
	v_cmp_gt_i32_e64 s1, v3, v5
	s_or_b32 s0, vcc_lo, s0
	s_delay_alu instid0(SALU_CYCLE_1) | instskip(NEXT) | instid1(SALU_CYCLE_1)
	s_and_b32 vcc_lo, s1, s0
	s_xor_b32 s0, vcc_lo, -1
	s_delay_alu instid0(SALU_CYCLE_1) | instskip(NEXT) | instid1(SALU_CYCLE_1)
	s_and_saveexec_b32 s1, s0
	s_xor_b32 s0, exec_lo, s1
; %bb.29:
	ds_load_u16 v12, v14 offset:2
                                        ; implicit-def: $vgpr13
; %bb.30:
	s_and_not1_saveexec_b32 s0, s0
	s_cbranch_execz .LBB5_32
; %bb.31:
	ds_load_u16 v9, v13 offset:2
	s_wait_dscnt 0x1
	v_mov_b32_e32 v12, v6
.LBB5_32:
	s_or_b32 exec_lo, exec_lo, s0
	v_dual_add_nc_u32 v13, 1, v10 :: v_dual_add_nc_u32 v14, 1, v5
	v_dual_cndmask_b32 v11, v6, v11, vcc_lo :: v_dual_bitop2_b32 v8, 64, v4 bitop3:0x40
	s_wait_dscnt 0x0
	v_cmp_gt_f16_e64 s0, v9, v12
	s_delay_alu instid0(VALU_DEP_3) | instskip(NEXT) | instid1(VALU_DEP_3)
	v_cndmask_b32_e32 v10, v13, v10, vcc_lo
	v_dual_cndmask_b32 v13, v5, v14, vcc_lo :: v_dual_add_nc_u32 v5, 64, v8
	v_or_b32_e32 v6, 32, v8
	s_delay_alu instid0(VALU_DEP_3) | instskip(NEXT) | instid1(VALU_DEP_3)
	v_cmp_ge_i32_e32 vcc_lo, v10, v7
	v_cmp_lt_i32_e64 s1, v13, v3
	s_delay_alu instid0(VALU_DEP_3)
	v_dual_sub_nc_u32 v7, v5, v6 :: v_dual_bitop2_b32 v3, 62, v4 bitop3:0x40
	s_barrier_signal -1
	s_or_b32 s0, vcc_lo, s0
	s_barrier_wait -1
	s_and_b32 vcc_lo, s1, s0
	v_dual_cndmask_b32 v9, v12, v9 :: v_dual_sub_nc_u32 v10, v3, v7
	v_cmp_ge_i32_e32 vcc_lo, v3, v7
	v_sub_nc_u32_e32 v12, v6, v8
	ds_store_b16 v2, v11
	ds_store_b16 v2, v9 offset:2
	v_lshlrev_b32_e32 v9, 1, v8
	s_mov_b32 s1, 0
	v_dual_cndmask_b32 v7, 0, v10 :: v_dual_min_i32 v10, v3, v12
	s_mov_b32 s0, exec_lo
	s_wait_dscnt 0x0
	s_barrier_signal -1
	s_barrier_wait -1
	v_cmpx_lt_i32_e64 v7, v10
	s_cbranch_execz .LBB5_36
; %bb.33:
	v_lshlrev_b32_e32 v11, 1, v3
	s_delay_alu instid0(VALU_DEP_1)
	v_lshl_add_u32 v11, v6, 1, v11
.LBB5_34:                               ; =>This Inner Loop Header: Depth=1
	v_sub_nc_u32_e32 v12, v10, v7
	s_delay_alu instid0(VALU_DEP_1) | instskip(NEXT) | instid1(VALU_DEP_1)
	v_lshrrev_b32_e32 v12, 1, v12
	v_add_nc_u32_e32 v12, v12, v7
	s_delay_alu instid0(VALU_DEP_1) | instskip(SKIP_1) | instid1(VALU_DEP_2)
	v_not_b32_e32 v13, v12
	v_lshl_add_u32 v14, v12, 1, v9
	v_lshl_add_u32 v13, v13, 1, v11
	ds_load_u16 v14, v14
	ds_load_u16 v13, v13
	s_wait_dscnt 0x0
	v_cmp_gt_f16_e32 vcc_lo, v13, v14
	v_dual_cndmask_b32 v10, v10, v12 :: v_dual_add_nc_u32 v15, 1, v12
	s_delay_alu instid0(VALU_DEP_1) | instskip(NEXT) | instid1(VALU_DEP_1)
	v_cndmask_b32_e32 v7, v15, v7, vcc_lo
	v_cmp_ge_i32_e32 vcc_lo, v7, v10
	s_or_b32 s1, vcc_lo, s1
	s_delay_alu instid0(SALU_CYCLE_1)
	s_and_not1_b32 exec_lo, exec_lo, s1
	s_cbranch_execnz .LBB5_34
; %bb.35:
	s_or_b32 exec_lo, exec_lo, s1
.LBB5_36:
	s_delay_alu instid0(SALU_CYCLE_1) | instskip(SKIP_2) | instid1(VALU_DEP_2)
	s_or_b32 exec_lo, exec_lo, s0
	v_dual_add_nc_u32 v3, v6, v3 :: v_dual_add_nc_u32 v11, v7, v8
	v_lshl_add_u32 v13, v7, 1, v9
                                        ; implicit-def: $vgpr8
	v_sub_nc_u32_e32 v3, v3, v7
	s_delay_alu instid0(VALU_DEP_3) | instskip(NEXT) | instid1(VALU_DEP_2)
	v_cmp_le_i32_e32 vcc_lo, v6, v11
	v_lshlrev_b32_e32 v12, 1, v3
	ds_load_u16 v9, v13
	ds_load_u16 v10, v12
	s_wait_dscnt 0x0
	v_cmp_gt_f16_e64 s0, v10, v9
	v_mov_b32_e32 v7, v10
	v_cmp_gt_i32_e64 s1, v5, v3
	s_or_b32 s0, vcc_lo, s0
	s_delay_alu instid0(SALU_CYCLE_1) | instskip(NEXT) | instid1(SALU_CYCLE_1)
	s_and_b32 vcc_lo, s1, s0
	s_xor_b32 s0, vcc_lo, -1
	s_delay_alu instid0(SALU_CYCLE_1) | instskip(NEXT) | instid1(SALU_CYCLE_1)
	s_and_saveexec_b32 s1, s0
	s_xor_b32 s0, exec_lo, s1
; %bb.37:
	ds_load_u16 v8, v13 offset:2
                                        ; implicit-def: $vgpr12
; %bb.38:
	s_and_not1_saveexec_b32 s0, s0
	s_cbranch_execz .LBB5_40
; %bb.39:
	ds_load_u16 v7, v12 offset:2
	s_wait_dscnt 0x1
	v_mov_b32_e32 v8, v9
.LBB5_40:
	s_or_b32 exec_lo, exec_lo, s0
	v_dual_cndmask_b32 v9, v9, v10 :: v_dual_add_nc_u32 v12, 1, v11
	v_and_b32_e32 v4, 0x7e, v4
	v_add_nc_u32_e32 v13, 1, v3
	s_wait_dscnt 0x0
	s_delay_alu instid0(VALU_DEP_3)
	v_cndmask_b32_e32 v11, v12, v11, vcc_lo
	s_barrier_signal -1
	s_barrier_wait -1
	v_cndmask_b32_e32 v3, v3, v13, vcc_lo
	v_cmp_gt_f16_e32 vcc_lo, v7, v8
	v_cmp_ge_i32_e64 s0, v11, v6
	s_delay_alu instid0(VALU_DEP_3)
	v_cmp_lt_i32_e64 s1, v3, v5
	v_sub_nc_u32_e64 v3, v4, 64 clamp
	s_or_b32 s0, s0, vcc_lo
	v_min_i32_e32 v5, 64, v4
	s_and_b32 vcc_lo, s1, s0
	s_mov_b32 s0, exec_lo
	v_cndmask_b32_e32 v6, v8, v7, vcc_lo
	ds_store_b16 v2, v9
	ds_store_b16 v2, v6 offset:2
	s_wait_dscnt 0x0
	s_barrier_signal -1
	s_barrier_wait -1
	v_cmpx_lt_i32_e64 v3, v5
	s_cbranch_execz .LBB5_44
; %bb.41:
	v_lshlrev_b32_e32 v2, 1, v4
	s_mov_b32 s1, 0
	s_delay_alu instid0(VALU_DEP_1)
	v_lshl_add_u32 v2, 64, 1, v2
.LBB5_42:                               ; =>This Inner Loop Header: Depth=1
	v_sub_nc_u32_e32 v6, v5, v3
	s_delay_alu instid0(VALU_DEP_1) | instskip(NEXT) | instid1(VALU_DEP_1)
	v_lshrrev_b32_e32 v6, 1, v6
	v_add_nc_u32_e32 v6, v6, v3
	s_delay_alu instid0(VALU_DEP_1) | instskip(SKIP_1) | instid1(VALU_DEP_2)
	v_not_b32_e32 v7, v6
	v_dual_lshlrev_b32 v8, 1, v6 :: v_dual_add_nc_u32 v9, 1, v6
	v_lshl_add_u32 v7, v7, 1, v2
	ds_load_u16 v8, v8
	ds_load_u16 v7, v7
	s_wait_dscnt 0x0
	v_cmp_gt_f16_e32 vcc_lo, v7, v8
	v_cndmask_b32_e32 v5, v5, v6, vcc_lo
	v_cndmask_b32_e32 v3, v9, v3, vcc_lo
	s_delay_alu instid0(VALU_DEP_1) | instskip(SKIP_1) | instid1(SALU_CYCLE_1)
	v_cmp_ge_i32_e32 vcc_lo, v3, v5
	s_or_b32 s1, vcc_lo, s1
	s_and_not1_b32 exec_lo, exec_lo, s1
	s_cbranch_execnz .LBB5_42
; %bb.43:
	s_or_b32 exec_lo, exec_lo, s1
.LBB5_44:
	s_delay_alu instid0(SALU_CYCLE_1) | instskip(SKIP_2) | instid1(VALU_DEP_2)
	s_or_b32 exec_lo, exec_lo, s0
	v_dual_add_nc_u32 v2, 64, v4 :: v_dual_lshlrev_b32 v8, 1, v3
	v_cmp_gt_i32_e32 vcc_lo, 64, v3
                                        ; implicit-def: $vgpr6
	v_sub_nc_u32_e32 v2, v2, v3
	s_delay_alu instid0(VALU_DEP_1)
	v_lshlrev_b32_e32 v7, 1, v2
	v_cmp_lt_i32_e64 s1, 0x7f, v2
	ds_load_u16 v5, v8
	ds_load_u16 v4, v7
	s_wait_dscnt 0x0
	v_cmp_ngt_f16_e64 s0, v4, v5
	s_and_b32 s0, vcc_lo, s0
	s_delay_alu instid0(SALU_CYCLE_1) | instskip(NEXT) | instid1(SALU_CYCLE_1)
	s_or_b32 s0, s1, s0
	s_and_saveexec_b32 s1, s0
	s_delay_alu instid0(SALU_CYCLE_1)
	s_xor_b32 s0, exec_lo, s1
; %bb.45:
	ds_load_u16 v6, v8 offset:2
	v_add_nc_u32_e32 v3, 1, v3
                                        ; implicit-def: $vgpr7
; %bb.46:
	s_or_saveexec_b32 s0, s0
	v_mov_b32_e32 v8, v5
	s_xor_b32 exec_lo, exec_lo, s0
	s_cbranch_execz .LBB5_48
; %bb.47:
	ds_load_u16 v7, v7 offset:2
	v_dual_add_nc_u32 v2, 1, v2 :: v_dual_mov_b32 v8, v4
	s_wait_dscnt 0x0
	v_dual_mov_b32 v6, v5 :: v_dual_mov_b32 v4, v7
.LBB5_48:
	s_or_b32 exec_lo, exec_lo, s0
	v_cmp_le_i32_e32 vcc_lo, 64, v3
	s_wait_dscnt 0x0
	s_delay_alu instid0(VALU_DEP_2) | instskip(SKIP_2) | instid1(SALU_CYCLE_1)
	v_cmp_gt_f16_e64 s0, v4, v6
	v_cmp_gt_i32_e64 s1, 0x80, v2
	s_or_b32 s0, vcc_lo, s0
	s_and_b32 vcc_lo, s1, s0
	v_cndmask_b32_e32 v2, v6, v4, vcc_lo
	s_delay_alu instid0(VALU_DEP_1)
	v_perm_b32 v2, v2, v8, 0x5040100
	global_store_b32 v[0:1], v2, off
	s_endpgm
	.section	.rodata,"a",@progbits
	.p2align	6, 0x0
	.amdhsa_kernel _Z15sort_key_kernelILj64ELj2E6__halfN10test_utils7greaterEEvPT1_T2_
		.amdhsa_group_segment_fixed_size 258
		.amdhsa_private_segment_fixed_size 0
		.amdhsa_kernarg_size 12
		.amdhsa_user_sgpr_count 2
		.amdhsa_user_sgpr_dispatch_ptr 0
		.amdhsa_user_sgpr_queue_ptr 0
		.amdhsa_user_sgpr_kernarg_segment_ptr 1
		.amdhsa_user_sgpr_dispatch_id 0
		.amdhsa_user_sgpr_kernarg_preload_length 0
		.amdhsa_user_sgpr_kernarg_preload_offset 0
		.amdhsa_user_sgpr_private_segment_size 0
		.amdhsa_wavefront_size32 1
		.amdhsa_uses_dynamic_stack 0
		.amdhsa_enable_private_segment 0
		.amdhsa_system_sgpr_workgroup_id_x 1
		.amdhsa_system_sgpr_workgroup_id_y 0
		.amdhsa_system_sgpr_workgroup_id_z 0
		.amdhsa_system_sgpr_workgroup_info 0
		.amdhsa_system_vgpr_workitem_id 0
		.amdhsa_next_free_vgpr 16
		.amdhsa_next_free_sgpr 6
		.amdhsa_named_barrier_count 0
		.amdhsa_reserve_vcc 1
		.amdhsa_float_round_mode_32 0
		.amdhsa_float_round_mode_16_64 0
		.amdhsa_float_denorm_mode_32 3
		.amdhsa_float_denorm_mode_16_64 3
		.amdhsa_fp16_overflow 0
		.amdhsa_memory_ordered 1
		.amdhsa_forward_progress 1
		.amdhsa_inst_pref_size 23
		.amdhsa_round_robin_scheduling 0
		.amdhsa_exception_fp_ieee_invalid_op 0
		.amdhsa_exception_fp_denorm_src 0
		.amdhsa_exception_fp_ieee_div_zero 0
		.amdhsa_exception_fp_ieee_overflow 0
		.amdhsa_exception_fp_ieee_underflow 0
		.amdhsa_exception_fp_ieee_inexact 0
		.amdhsa_exception_int_div_zero 0
	.end_amdhsa_kernel
	.section	.text._Z15sort_key_kernelILj64ELj2E6__halfN10test_utils7greaterEEvPT1_T2_,"axG",@progbits,_Z15sort_key_kernelILj64ELj2E6__halfN10test_utils7greaterEEvPT1_T2_,comdat
.Lfunc_end5:
	.size	_Z15sort_key_kernelILj64ELj2E6__halfN10test_utils7greaterEEvPT1_T2_, .Lfunc_end5-_Z15sort_key_kernelILj64ELj2E6__halfN10test_utils7greaterEEvPT1_T2_
                                        ; -- End function
	.set _Z15sort_key_kernelILj64ELj2E6__halfN10test_utils7greaterEEvPT1_T2_.num_vgpr, 16
	.set _Z15sort_key_kernelILj64ELj2E6__halfN10test_utils7greaterEEvPT1_T2_.num_agpr, 0
	.set _Z15sort_key_kernelILj64ELj2E6__halfN10test_utils7greaterEEvPT1_T2_.numbered_sgpr, 6
	.set _Z15sort_key_kernelILj64ELj2E6__halfN10test_utils7greaterEEvPT1_T2_.num_named_barrier, 0
	.set _Z15sort_key_kernelILj64ELj2E6__halfN10test_utils7greaterEEvPT1_T2_.private_seg_size, 0
	.set _Z15sort_key_kernelILj64ELj2E6__halfN10test_utils7greaterEEvPT1_T2_.uses_vcc, 1
	.set _Z15sort_key_kernelILj64ELj2E6__halfN10test_utils7greaterEEvPT1_T2_.uses_flat_scratch, 0
	.set _Z15sort_key_kernelILj64ELj2E6__halfN10test_utils7greaterEEvPT1_T2_.has_dyn_sized_stack, 0
	.set _Z15sort_key_kernelILj64ELj2E6__halfN10test_utils7greaterEEvPT1_T2_.has_recursion, 0
	.set _Z15sort_key_kernelILj64ELj2E6__halfN10test_utils7greaterEEvPT1_T2_.has_indirect_call, 0
	.section	.AMDGPU.csdata,"",@progbits
; Kernel info:
; codeLenInByte = 2820
; TotalNumSgprs: 8
; NumVgprs: 16
; ScratchSize: 0
; MemoryBound: 0
; FloatMode: 240
; IeeeMode: 1
; LDSByteSize: 258 bytes/workgroup (compile time only)
; SGPRBlocks: 0
; VGPRBlocks: 0
; NumSGPRsForWavesPerEU: 8
; NumVGPRsForWavesPerEU: 16
; NamedBarCnt: 0
; Occupancy: 16
; WaveLimiterHint : 0
; COMPUTE_PGM_RSRC2:SCRATCH_EN: 0
; COMPUTE_PGM_RSRC2:USER_SGPR: 2
; COMPUTE_PGM_RSRC2:TRAP_HANDLER: 0
; COMPUTE_PGM_RSRC2:TGID_X_EN: 1
; COMPUTE_PGM_RSRC2:TGID_Y_EN: 0
; COMPUTE_PGM_RSRC2:TGID_Z_EN: 0
; COMPUTE_PGM_RSRC2:TIDIG_COMP_CNT: 0
	.section	.text._Z15sort_key_kernelILj64ELj2EfN10test_utils7greaterEEvPT1_T2_,"axG",@progbits,_Z15sort_key_kernelILj64ELj2EfN10test_utils7greaterEEvPT1_T2_,comdat
	.protected	_Z15sort_key_kernelILj64ELj2EfN10test_utils7greaterEEvPT1_T2_ ; -- Begin function _Z15sort_key_kernelILj64ELj2EfN10test_utils7greaterEEvPT1_T2_
	.globl	_Z15sort_key_kernelILj64ELj2EfN10test_utils7greaterEEvPT1_T2_
	.p2align	8
	.type	_Z15sort_key_kernelILj64ELj2EfN10test_utils7greaterEEvPT1_T2_,@function
_Z15sort_key_kernelILj64ELj2EfN10test_utils7greaterEEvPT1_T2_: ; @_Z15sort_key_kernelILj64ELj2EfN10test_utils7greaterEEvPT1_T2_
; %bb.0:
	s_load_b64 s[2:3], s[0:1], 0x0
	s_wait_xcnt 0x0
	s_bfe_u32 s0, ttmp6, 0x4000c
	s_and_b32 s1, ttmp6, 15
	s_add_co_i32 s0, s0, 1
	s_getreg_b32 s4, hwreg(HW_REG_IB_STS2, 6, 4)
	s_mul_i32 s0, ttmp9, s0
	v_lshlrev_b32_e32 v4, 1, v0
	s_add_co_i32 s1, s1, s0
	s_cmp_eq_u32 s4, 0
	v_mov_b32_e32 v3, 0
	s_cselect_b32 s0, ttmp9, s1
	s_mov_b32 s1, 0
	s_lshl_b32 s0, s0, 7
	v_and_b32_e32 v6, 0x7c, v4
	s_lshl_b64 s[4:5], s[0:1], 2
	s_delay_alu instid0(VALU_DEP_1)
	v_dual_add_nc_u32 v5, 4, v6 :: v_dual_bitop2_b32 v7, 2, v6 bitop3:0x54
	v_and_b32_e32 v8, 2, v4
	s_wait_kmcnt 0x0
	s_add_nc_u64 s[2:3], s[2:3], s[4:5]
	v_lshlrev_b32_e32 v2, 3, v0
	global_load_b64 v[14:15], v0, s[2:3] scale_offset
	s_wait_xcnt 0x0
	v_dual_sub_nc_u32 v1, v5, v7 :: v_dual_sub_nc_u32 v0, v7, v6
	v_lshlrev_b32_e32 v10, 2, v6
	s_wait_loadcnt 0x0
	s_barrier_signal -1
	s_delay_alu instid0(VALU_DEP_2) | instskip(SKIP_3) | instid1(VALU_DEP_2)
	v_sub_nc_u32_e32 v9, v8, v1
	v_cmp_ge_i32_e64 s0, v8, v1
	v_min_i32_e32 v0, v8, v0
	s_barrier_wait -1
	v_cndmask_b32_e64 v12, 0, v9, s0
	s_mov_b32 s0, exec_lo
	v_cmp_gt_f32_e32 vcc_lo, v15, v14
	v_dual_cndmask_b32 v1, v15, v14, vcc_lo :: v_dual_cndmask_b32 v9, v14, v15, vcc_lo
	ds_store_2addr_b32 v2, v9, v1 offset1:1
	s_wait_dscnt 0x0
	s_barrier_signal -1
	s_barrier_wait -1
	v_cmpx_lt_i32_e64 v12, v0
	s_cbranch_execz .LBB6_4
; %bb.1:
	v_lshlrev_b32_e32 v1, 2, v8
	s_delay_alu instid0(VALU_DEP_1)
	v_lshl_add_u32 v1, v7, 2, v1
.LBB6_2:                                ; =>This Inner Loop Header: Depth=1
	v_sub_nc_u32_e32 v9, v0, v12
	s_delay_alu instid0(VALU_DEP_1) | instskip(NEXT) | instid1(VALU_DEP_1)
	v_lshrrev_b32_e32 v9, 1, v9
	v_add_nc_u32_e32 v9, v9, v12
	s_delay_alu instid0(VALU_DEP_1) | instskip(SKIP_1) | instid1(VALU_DEP_2)
	v_not_b32_e32 v11, v9
	v_lshl_add_u32 v13, v9, 2, v10
	v_lshl_add_u32 v11, v11, 2, v1
	ds_load_b32 v13, v13
	ds_load_b32 v11, v11
	s_wait_dscnt 0x0
	v_cmp_gt_f32_e32 vcc_lo, v11, v13
	v_dual_add_nc_u32 v14, 1, v9 :: v_dual_cndmask_b32 v0, v0, v9, vcc_lo
	s_delay_alu instid0(VALU_DEP_1) | instskip(NEXT) | instid1(VALU_DEP_1)
	v_cndmask_b32_e32 v12, v14, v12, vcc_lo
	v_cmp_ge_i32_e32 vcc_lo, v12, v0
	s_or_b32 s1, vcc_lo, s1
	s_delay_alu instid0(SALU_CYCLE_1)
	s_and_not1_b32 exec_lo, exec_lo, s1
	s_cbranch_execnz .LBB6_2
; %bb.3:
	s_or_b32 exec_lo, exec_lo, s1
.LBB6_4:
	s_delay_alu instid0(SALU_CYCLE_1) | instskip(SKIP_3) | instid1(VALU_DEP_2)
	s_or_b32 exec_lo, exec_lo, s0
	v_add_nc_u64_e32 v[0:1], s[2:3], v[2:3]
	v_add_nc_u32_e32 v3, v7, v8
	v_lshl_add_u32 v13, v12, 2, v10
	v_dual_sub_nc_u32 v9, v3, v12 :: v_dual_add_nc_u32 v3, v12, v6
                                        ; implicit-def: $vgpr12
	s_delay_alu instid0(VALU_DEP_1) | instskip(NEXT) | instid1(VALU_DEP_2)
	v_lshlrev_b32_e32 v8, 2, v9
	v_cmp_le_i32_e32 vcc_lo, v7, v3
	v_cmp_gt_i32_e64 s1, v5, v9
	ds_load_b32 v10, v13
	ds_load_b32 v11, v8
	s_wait_dscnt 0x0
	v_cmp_gt_f32_e64 s0, v11, v10
	s_or_b32 s0, vcc_lo, s0
	s_delay_alu instid0(SALU_CYCLE_1) | instskip(NEXT) | instid1(SALU_CYCLE_1)
	s_and_b32 vcc_lo, s1, s0
	s_xor_b32 s0, vcc_lo, -1
	s_delay_alu instid0(SALU_CYCLE_1) | instskip(NEXT) | instid1(SALU_CYCLE_1)
	s_and_saveexec_b32 s1, s0
	s_xor_b32 s0, exec_lo, s1
; %bb.5:
	ds_load_b32 v12, v13 offset:4
                                        ; implicit-def: $vgpr8
; %bb.6:
	s_or_saveexec_b32 s0, s0
	v_mov_b32_e32 v13, v11
	s_xor_b32 exec_lo, exec_lo, s0
	s_cbranch_execz .LBB6_8
; %bb.7:
	ds_load_b32 v13, v8 offset:4
	s_wait_dscnt 0x1
	v_mov_b32_e32 v12, v10
.LBB6_8:
	s_or_b32 exec_lo, exec_lo, s0
	v_dual_add_nc_u32 v6, 1, v3 :: v_dual_add_nc_u32 v14, 1, v9
	v_and_b32_e32 v8, 0x78, v4
	s_wait_dscnt 0x0
	v_cmp_gt_f32_e64 s0, v13, v12
	v_cndmask_b32_e32 v11, v10, v11, vcc_lo
	v_dual_cndmask_b32 v15, v6, v3 :: v_dual_cndmask_b32 v14, v9, v14
	v_dual_add_nc_u32 v3, 8, v8 :: v_dual_bitop2_b32 v6, 4, v8 bitop3:0x54
	v_and_b32_e32 v9, 6, v4
	s_delay_alu instid0(VALU_DEP_3) | instskip(NEXT) | instid1(VALU_DEP_4)
	v_cmp_ge_i32_e64 s1, v15, v7
	v_cmp_lt_i32_e64 s2, v14, v5
	s_delay_alu instid0(VALU_DEP_4)
	v_sub_nc_u32_e32 v7, v3, v6
	s_barrier_signal -1
	s_or_b32 s0, s1, s0
	v_sub_nc_u32_e32 v10, v6, v8
	s_and_b32 vcc_lo, s2, s0
	v_dual_cndmask_b32 v12, v12, v13 :: v_dual_sub_nc_u32 v5, v9, v7
	v_cmp_ge_i32_e32 vcc_lo, v9, v7
	v_lshlrev_b32_e32 v7, 2, v8
	s_mov_b32 s1, 0
	s_mov_b32 s0, exec_lo
	v_dual_cndmask_b32 v5, 0, v5 :: v_dual_min_i32 v10, v9, v10
	s_barrier_wait -1
	ds_store_2addr_b32 v2, v11, v12 offset1:1
	s_wait_dscnt 0x0
	s_barrier_signal -1
	s_barrier_wait -1
	v_cmpx_lt_i32_e64 v5, v10
	s_cbranch_execz .LBB6_12
; %bb.9:
	v_lshlrev_b32_e32 v11, 2, v9
	s_delay_alu instid0(VALU_DEP_1)
	v_lshl_add_u32 v11, v6, 2, v11
.LBB6_10:                               ; =>This Inner Loop Header: Depth=1
	v_sub_nc_u32_e32 v12, v10, v5
	s_delay_alu instid0(VALU_DEP_1) | instskip(NEXT) | instid1(VALU_DEP_1)
	v_lshrrev_b32_e32 v12, 1, v12
	v_add_nc_u32_e32 v12, v12, v5
	s_delay_alu instid0(VALU_DEP_1) | instskip(SKIP_1) | instid1(VALU_DEP_2)
	v_not_b32_e32 v13, v12
	v_lshl_add_u32 v14, v12, 2, v7
	v_lshl_add_u32 v13, v13, 2, v11
	ds_load_b32 v14, v14
	ds_load_b32 v13, v13
	s_wait_dscnt 0x0
	v_cmp_gt_f32_e32 vcc_lo, v13, v14
	v_dual_cndmask_b32 v10, v10, v12 :: v_dual_add_nc_u32 v15, 1, v12
	s_delay_alu instid0(VALU_DEP_1) | instskip(NEXT) | instid1(VALU_DEP_1)
	v_cndmask_b32_e32 v5, v15, v5, vcc_lo
	v_cmp_ge_i32_e32 vcc_lo, v5, v10
	s_or_b32 s1, vcc_lo, s1
	s_delay_alu instid0(SALU_CYCLE_1)
	s_and_not1_b32 exec_lo, exec_lo, s1
	s_cbranch_execnz .LBB6_10
; %bb.11:
	s_or_b32 exec_lo, exec_lo, s1
.LBB6_12:
	s_delay_alu instid0(SALU_CYCLE_1) | instskip(SKIP_2) | instid1(VALU_DEP_2)
	s_or_b32 exec_lo, exec_lo, s0
	v_add_nc_u32_e32 v9, v6, v9
	v_lshl_add_u32 v13, v5, 2, v7
                                        ; implicit-def: $vgpr12
	v_sub_nc_u32_e32 v9, v9, v5
	s_delay_alu instid0(VALU_DEP_1) | instskip(NEXT) | instid1(VALU_DEP_1)
	v_dual_add_nc_u32 v5, v5, v8 :: v_dual_lshlrev_b32 v7, 2, v9
	v_cmp_le_i32_e32 vcc_lo, v6, v5
	v_cmp_gt_i32_e64 s1, v3, v9
	ds_load_b32 v10, v13
	ds_load_b32 v11, v7
	s_wait_dscnt 0x0
	v_cmp_gt_f32_e64 s0, v11, v10
	s_or_b32 s0, vcc_lo, s0
	s_delay_alu instid0(SALU_CYCLE_1) | instskip(NEXT) | instid1(SALU_CYCLE_1)
	s_and_b32 vcc_lo, s1, s0
	s_xor_b32 s0, vcc_lo, -1
	s_delay_alu instid0(SALU_CYCLE_1) | instskip(NEXT) | instid1(SALU_CYCLE_1)
	s_and_saveexec_b32 s1, s0
	s_xor_b32 s0, exec_lo, s1
; %bb.13:
	ds_load_b32 v12, v13 offset:4
                                        ; implicit-def: $vgpr7
; %bb.14:
	s_or_saveexec_b32 s0, s0
	v_mov_b32_e32 v13, v11
	s_xor_b32 exec_lo, exec_lo, s0
	s_cbranch_execz .LBB6_16
; %bb.15:
	ds_load_b32 v13, v7 offset:4
	s_wait_dscnt 0x1
	v_mov_b32_e32 v12, v10
.LBB6_16:
	s_or_b32 exec_lo, exec_lo, s0
	v_and_b32_e32 v8, 0x70, v4
	v_add_nc_u32_e32 v7, 1, v5
	v_add_nc_u32_e32 v14, 1, v9
	s_wait_dscnt 0x0
	v_cmp_gt_f32_e64 s0, v13, v12
	s_barrier_signal -1
	v_dual_cndmask_b32 v15, v7, v5, vcc_lo :: v_dual_bitop2_b32 v7, 8, v8 bitop3:0x54
	v_dual_cndmask_b32 v14, v9, v14 :: v_dual_add_nc_u32 v5, 16, v8
	v_and_b32_e32 v9, 14, v4
	s_delay_alu instid0(VALU_DEP_3) | instskip(SKIP_1) | instid1(VALU_DEP_3)
	v_cmp_ge_i32_e64 s1, v15, v6
	s_barrier_wait -1
	v_cmp_lt_i32_e64 s2, v14, v3
	v_sub_nc_u32_e32 v6, v5, v7
	v_cndmask_b32_e32 v11, v10, v11, vcc_lo
	s_or_b32 s0, s1, s0
	s_mov_b32 s1, 0
	s_and_b32 vcc_lo, s2, s0
	v_dual_cndmask_b32 v12, v12, v13 :: v_dual_sub_nc_u32 v3, v9, v6
	v_sub_nc_u32_e32 v10, v7, v8
	v_cmp_ge_i32_e32 vcc_lo, v9, v6
	v_lshlrev_b32_e32 v6, 2, v8
	s_mov_b32 s0, exec_lo
	s_delay_alu instid0(VALU_DEP_3)
	v_dual_cndmask_b32 v3, 0, v3 :: v_dual_min_i32 v10, v9, v10
	ds_store_2addr_b32 v2, v11, v12 offset1:1
	s_wait_dscnt 0x0
	s_barrier_signal -1
	s_barrier_wait -1
	v_cmpx_lt_i32_e64 v3, v10
	s_cbranch_execz .LBB6_20
; %bb.17:
	v_lshlrev_b32_e32 v11, 2, v9
	s_delay_alu instid0(VALU_DEP_1)
	v_lshl_add_u32 v11, v7, 2, v11
.LBB6_18:                               ; =>This Inner Loop Header: Depth=1
	v_sub_nc_u32_e32 v12, v10, v3
	s_delay_alu instid0(VALU_DEP_1) | instskip(NEXT) | instid1(VALU_DEP_1)
	v_lshrrev_b32_e32 v12, 1, v12
	v_add_nc_u32_e32 v12, v12, v3
	s_delay_alu instid0(VALU_DEP_1) | instskip(SKIP_1) | instid1(VALU_DEP_2)
	v_not_b32_e32 v13, v12
	v_lshl_add_u32 v14, v12, 2, v6
	v_lshl_add_u32 v13, v13, 2, v11
	ds_load_b32 v14, v14
	ds_load_b32 v13, v13
	s_wait_dscnt 0x0
	v_cmp_gt_f32_e32 vcc_lo, v13, v14
	v_dual_cndmask_b32 v10, v10, v12 :: v_dual_add_nc_u32 v15, 1, v12
	s_delay_alu instid0(VALU_DEP_1) | instskip(NEXT) | instid1(VALU_DEP_1)
	v_cndmask_b32_e32 v3, v15, v3, vcc_lo
	v_cmp_ge_i32_e32 vcc_lo, v3, v10
	s_or_b32 s1, vcc_lo, s1
	s_delay_alu instid0(SALU_CYCLE_1)
	s_and_not1_b32 exec_lo, exec_lo, s1
	s_cbranch_execnz .LBB6_18
; %bb.19:
	s_or_b32 exec_lo, exec_lo, s1
.LBB6_20:
	s_delay_alu instid0(SALU_CYCLE_1) | instskip(SKIP_2) | instid1(VALU_DEP_2)
	s_or_b32 exec_lo, exec_lo, s0
	v_add_nc_u32_e32 v9, v7, v9
	v_lshl_add_u32 v13, v3, 2, v6
                                        ; implicit-def: $vgpr12
	v_dual_sub_nc_u32 v9, v9, v3 :: v_dual_add_nc_u32 v3, v3, v8
	s_delay_alu instid0(VALU_DEP_1) | instskip(NEXT) | instid1(VALU_DEP_2)
	v_lshlrev_b32_e32 v6, 2, v9
	v_cmp_le_i32_e32 vcc_lo, v7, v3
	v_cmp_gt_i32_e64 s1, v5, v9
	ds_load_b32 v10, v13
	ds_load_b32 v11, v6
	s_wait_dscnt 0x0
	v_cmp_gt_f32_e64 s0, v11, v10
	s_or_b32 s0, vcc_lo, s0
	s_delay_alu instid0(SALU_CYCLE_1) | instskip(NEXT) | instid1(SALU_CYCLE_1)
	s_and_b32 vcc_lo, s1, s0
	s_xor_b32 s0, vcc_lo, -1
	s_delay_alu instid0(SALU_CYCLE_1) | instskip(NEXT) | instid1(SALU_CYCLE_1)
	s_and_saveexec_b32 s1, s0
	s_xor_b32 s0, exec_lo, s1
; %bb.21:
	ds_load_b32 v12, v13 offset:4
                                        ; implicit-def: $vgpr6
; %bb.22:
	s_or_saveexec_b32 s0, s0
	v_mov_b32_e32 v13, v11
	s_xor_b32 exec_lo, exec_lo, s0
	s_cbranch_execz .LBB6_24
; %bb.23:
	ds_load_b32 v13, v6 offset:4
	s_wait_dscnt 0x1
	v_mov_b32_e32 v12, v10
.LBB6_24:
	s_or_b32 exec_lo, exec_lo, s0
	v_dual_add_nc_u32 v6, 1, v3 :: v_dual_add_nc_u32 v14, 1, v9
	v_and_b32_e32 v8, 0x60, v4
	s_wait_dscnt 0x0
	v_cmp_gt_f32_e64 s0, v13, v12
	v_cndmask_b32_e32 v11, v10, v11, vcc_lo
	v_dual_cndmask_b32 v15, v6, v3 :: v_dual_cndmask_b32 v14, v9, v14
	v_dual_add_nc_u32 v3, 32, v8 :: v_dual_bitop2_b32 v6, 16, v8 bitop3:0x54
	v_and_b32_e32 v9, 30, v4
	s_delay_alu instid0(VALU_DEP_3) | instskip(NEXT) | instid1(VALU_DEP_4)
	v_cmp_ge_i32_e64 s1, v15, v7
	v_cmp_lt_i32_e64 s2, v14, v5
	s_delay_alu instid0(VALU_DEP_4)
	v_sub_nc_u32_e32 v7, v3, v6
	s_barrier_signal -1
	s_or_b32 s0, s1, s0
	v_sub_nc_u32_e32 v10, v6, v8
	s_and_b32 vcc_lo, s2, s0
	v_dual_cndmask_b32 v12, v12, v13 :: v_dual_sub_nc_u32 v5, v9, v7
	v_cmp_ge_i32_e32 vcc_lo, v9, v7
	v_lshlrev_b32_e32 v7, 2, v8
	s_mov_b32 s1, 0
	s_mov_b32 s0, exec_lo
	v_dual_cndmask_b32 v5, 0, v5 :: v_dual_min_i32 v10, v9, v10
	s_barrier_wait -1
	ds_store_2addr_b32 v2, v11, v12 offset1:1
	s_wait_dscnt 0x0
	s_barrier_signal -1
	s_barrier_wait -1
	v_cmpx_lt_i32_e64 v5, v10
	s_cbranch_execz .LBB6_28
; %bb.25:
	v_lshlrev_b32_e32 v11, 2, v9
	s_delay_alu instid0(VALU_DEP_1)
	v_lshl_add_u32 v11, v6, 2, v11
.LBB6_26:                               ; =>This Inner Loop Header: Depth=1
	v_sub_nc_u32_e32 v12, v10, v5
	s_delay_alu instid0(VALU_DEP_1) | instskip(NEXT) | instid1(VALU_DEP_1)
	v_lshrrev_b32_e32 v12, 1, v12
	v_add_nc_u32_e32 v12, v12, v5
	s_delay_alu instid0(VALU_DEP_1) | instskip(SKIP_1) | instid1(VALU_DEP_2)
	v_not_b32_e32 v13, v12
	v_lshl_add_u32 v14, v12, 2, v7
	v_lshl_add_u32 v13, v13, 2, v11
	ds_load_b32 v14, v14
	ds_load_b32 v13, v13
	s_wait_dscnt 0x0
	v_cmp_gt_f32_e32 vcc_lo, v13, v14
	v_dual_cndmask_b32 v10, v10, v12 :: v_dual_add_nc_u32 v15, 1, v12
	s_delay_alu instid0(VALU_DEP_1) | instskip(NEXT) | instid1(VALU_DEP_1)
	v_cndmask_b32_e32 v5, v15, v5, vcc_lo
	v_cmp_ge_i32_e32 vcc_lo, v5, v10
	s_or_b32 s1, vcc_lo, s1
	s_delay_alu instid0(SALU_CYCLE_1)
	s_and_not1_b32 exec_lo, exec_lo, s1
	s_cbranch_execnz .LBB6_26
; %bb.27:
	s_or_b32 exec_lo, exec_lo, s1
.LBB6_28:
	s_delay_alu instid0(SALU_CYCLE_1) | instskip(SKIP_2) | instid1(VALU_DEP_2)
	s_or_b32 exec_lo, exec_lo, s0
	v_add_nc_u32_e32 v9, v6, v9
	v_lshl_add_u32 v13, v5, 2, v7
                                        ; implicit-def: $vgpr12
	v_sub_nc_u32_e32 v9, v9, v5
	s_delay_alu instid0(VALU_DEP_1) | instskip(NEXT) | instid1(VALU_DEP_1)
	v_dual_add_nc_u32 v5, v5, v8 :: v_dual_lshlrev_b32 v7, 2, v9
	v_cmp_le_i32_e32 vcc_lo, v6, v5
	v_cmp_gt_i32_e64 s1, v3, v9
	ds_load_b32 v10, v13
	ds_load_b32 v11, v7
	s_wait_dscnt 0x0
	v_cmp_gt_f32_e64 s0, v11, v10
	s_or_b32 s0, vcc_lo, s0
	s_delay_alu instid0(SALU_CYCLE_1) | instskip(NEXT) | instid1(SALU_CYCLE_1)
	s_and_b32 vcc_lo, s1, s0
	s_xor_b32 s0, vcc_lo, -1
	s_delay_alu instid0(SALU_CYCLE_1) | instskip(NEXT) | instid1(SALU_CYCLE_1)
	s_and_saveexec_b32 s1, s0
	s_xor_b32 s0, exec_lo, s1
; %bb.29:
	ds_load_b32 v12, v13 offset:4
                                        ; implicit-def: $vgpr7
; %bb.30:
	s_or_saveexec_b32 s0, s0
	v_mov_b32_e32 v13, v11
	s_xor_b32 exec_lo, exec_lo, s0
	s_cbranch_execz .LBB6_32
; %bb.31:
	ds_load_b32 v13, v7 offset:4
	s_wait_dscnt 0x1
	v_mov_b32_e32 v12, v10
.LBB6_32:
	s_or_b32 exec_lo, exec_lo, s0
	v_dual_add_nc_u32 v7, 1, v5 :: v_dual_bitop2_b32 v8, 64, v4 bitop3:0x40
	v_add_nc_u32_e32 v14, 1, v9
	s_wait_dscnt 0x0
	v_cmp_gt_f32_e64 s0, v13, v12
	s_delay_alu instid0(VALU_DEP_3) | instskip(NEXT) | instid1(VALU_DEP_3)
	v_dual_cndmask_b32 v15, v7, v5, vcc_lo :: v_dual_add_nc_u32 v5, 64, v8
	v_dual_cndmask_b32 v14, v9, v14, vcc_lo :: v_dual_bitop2_b32 v7, 32, v8 bitop3:0x54
	v_and_b32_e32 v9, 62, v4
	s_delay_alu instid0(VALU_DEP_3)
	v_cmp_ge_i32_e64 s1, v15, v6
	v_cndmask_b32_e32 v11, v10, v11, vcc_lo
	s_barrier_signal -1
	v_cmp_lt_i32_e64 s2, v14, v3
	s_barrier_wait -1
	s_or_b32 s0, s1, s0
	s_mov_b32 s1, 0
	s_and_b32 vcc_lo, s2, s0
	s_delay_alu instid0(SALU_CYCLE_1) | instskip(SKIP_1) | instid1(VALU_DEP_1)
	v_dual_sub_nc_u32 v6, v5, v7 :: v_dual_cndmask_b32 v12, v12, v13, vcc_lo
	s_mov_b32 s0, exec_lo
	v_sub_nc_u32_e32 v3, v9, v6
	v_cmp_ge_i32_e32 vcc_lo, v9, v6
	v_dual_sub_nc_u32 v10, v7, v8 :: v_dual_lshlrev_b32 v6, 2, v8
	ds_store_2addr_b32 v2, v11, v12 offset1:1
	s_wait_dscnt 0x0
	v_dual_cndmask_b32 v3, 0, v3 :: v_dual_min_i32 v10, v9, v10
	s_barrier_signal -1
	s_barrier_wait -1
	s_delay_alu instid0(VALU_DEP_1)
	v_cmpx_lt_i32_e64 v3, v10
	s_cbranch_execz .LBB6_36
; %bb.33:
	v_lshlrev_b32_e32 v11, 2, v9
	s_delay_alu instid0(VALU_DEP_1)
	v_lshl_add_u32 v11, v7, 2, v11
.LBB6_34:                               ; =>This Inner Loop Header: Depth=1
	v_sub_nc_u32_e32 v12, v10, v3
	s_delay_alu instid0(VALU_DEP_1) | instskip(NEXT) | instid1(VALU_DEP_1)
	v_lshrrev_b32_e32 v12, 1, v12
	v_add_nc_u32_e32 v12, v12, v3
	s_delay_alu instid0(VALU_DEP_1) | instskip(SKIP_1) | instid1(VALU_DEP_2)
	v_not_b32_e32 v13, v12
	v_lshl_add_u32 v14, v12, 2, v6
	v_lshl_add_u32 v13, v13, 2, v11
	ds_load_b32 v14, v14
	ds_load_b32 v13, v13
	s_wait_dscnt 0x0
	v_cmp_gt_f32_e32 vcc_lo, v13, v14
	v_dual_cndmask_b32 v10, v10, v12 :: v_dual_add_nc_u32 v15, 1, v12
	s_delay_alu instid0(VALU_DEP_1) | instskip(NEXT) | instid1(VALU_DEP_1)
	v_cndmask_b32_e32 v3, v15, v3, vcc_lo
	v_cmp_ge_i32_e32 vcc_lo, v3, v10
	s_or_b32 s1, vcc_lo, s1
	s_delay_alu instid0(SALU_CYCLE_1)
	s_and_not1_b32 exec_lo, exec_lo, s1
	s_cbranch_execnz .LBB6_34
; %bb.35:
	s_or_b32 exec_lo, exec_lo, s1
.LBB6_36:
	s_delay_alu instid0(SALU_CYCLE_1) | instskip(SKIP_2) | instid1(VALU_DEP_2)
	s_or_b32 exec_lo, exec_lo, s0
	v_add_nc_u32_e32 v9, v7, v9
	v_lshl_add_u32 v11, v3, 2, v6
	v_dual_sub_nc_u32 v10, v9, v3 :: v_dual_add_nc_u32 v3, v3, v8
                                        ; implicit-def: $vgpr8
	s_delay_alu instid0(VALU_DEP_1) | instskip(NEXT) | instid1(VALU_DEP_2)
	v_lshlrev_b32_e32 v12, 2, v10
	v_cmp_le_i32_e32 vcc_lo, v7, v3
	v_cmp_gt_i32_e64 s1, v5, v10
	ds_load_b32 v6, v11
	ds_load_b32 v9, v12
	s_wait_dscnt 0x0
	v_cmp_gt_f32_e64 s0, v9, v6
	s_or_b32 s0, vcc_lo, s0
	s_delay_alu instid0(SALU_CYCLE_1) | instskip(NEXT) | instid1(SALU_CYCLE_1)
	s_and_b32 vcc_lo, s1, s0
	s_xor_b32 s0, vcc_lo, -1
	s_delay_alu instid0(SALU_CYCLE_1) | instskip(NEXT) | instid1(SALU_CYCLE_1)
	s_and_saveexec_b32 s1, s0
	s_xor_b32 s0, exec_lo, s1
; %bb.37:
	ds_load_b32 v8, v11 offset:4
                                        ; implicit-def: $vgpr12
; %bb.38:
	s_or_saveexec_b32 s0, s0
	v_mov_b32_e32 v11, v9
	s_xor_b32 exec_lo, exec_lo, s0
	s_cbranch_execz .LBB6_40
; %bb.39:
	ds_load_b32 v11, v12 offset:4
	s_wait_dscnt 0x1
	v_mov_b32_e32 v8, v6
.LBB6_40:
	s_or_b32 exec_lo, exec_lo, s0
	v_dual_add_nc_u32 v12, 1, v3 :: v_dual_add_nc_u32 v13, 1, v10
	s_wait_dscnt 0x0
	s_delay_alu instid0(VALU_DEP_2) | instskip(SKIP_1) | instid1(VALU_DEP_3)
	v_cmp_gt_f32_e64 s0, v11, v8
	v_and_b32_e32 v4, 0x7e, v4
	v_dual_cndmask_b32 v6, v6, v9 :: v_dual_cndmask_b32 v3, v12, v3
	v_cndmask_b32_e32 v10, v10, v13, vcc_lo
	s_barrier_signal -1
	s_barrier_wait -1
	s_delay_alu instid0(VALU_DEP_2) | instskip(NEXT) | instid1(VALU_DEP_2)
	v_cmp_ge_i32_e64 s1, v3, v7
	v_cmp_lt_i32_e32 vcc_lo, v10, v5
	v_sub_nc_u32_e64 v3, v4, 64 clamp
	v_min_i32_e32 v5, 64, v4
	s_or_b32 s0, s1, s0
	s_delay_alu instid0(SALU_CYCLE_1)
	s_and_b32 vcc_lo, vcc_lo, s0
	s_mov_b32 s0, exec_lo
	v_cndmask_b32_e32 v7, v8, v11, vcc_lo
	ds_store_2addr_b32 v2, v6, v7 offset1:1
	s_wait_dscnt 0x0
	s_barrier_signal -1
	s_barrier_wait -1
	v_cmpx_lt_i32_e64 v3, v5
	s_cbranch_execz .LBB6_44
; %bb.41:
	v_lshlrev_b32_e32 v2, 2, v4
	s_mov_b32 s1, 0
	s_delay_alu instid0(VALU_DEP_1)
	v_lshl_add_u32 v2, 64, 2, v2
.LBB6_42:                               ; =>This Inner Loop Header: Depth=1
	v_sub_nc_u32_e32 v6, v5, v3
	s_delay_alu instid0(VALU_DEP_1) | instskip(NEXT) | instid1(VALU_DEP_1)
	v_lshrrev_b32_e32 v6, 1, v6
	v_add_nc_u32_e32 v6, v6, v3
	s_delay_alu instid0(VALU_DEP_1) | instskip(SKIP_1) | instid1(VALU_DEP_2)
	v_not_b32_e32 v7, v6
	v_dual_lshlrev_b32 v8, 2, v6 :: v_dual_add_nc_u32 v9, 1, v6
	v_lshl_add_u32 v7, v7, 2, v2
	ds_load_b32 v8, v8
	ds_load_b32 v7, v7
	s_wait_dscnt 0x0
	v_cmp_gt_f32_e32 vcc_lo, v7, v8
	v_cndmask_b32_e32 v5, v5, v6, vcc_lo
	v_cndmask_b32_e32 v3, v9, v3, vcc_lo
	s_delay_alu instid0(VALU_DEP_1) | instskip(SKIP_1) | instid1(SALU_CYCLE_1)
	v_cmp_ge_i32_e32 vcc_lo, v3, v5
	s_or_b32 s1, vcc_lo, s1
	s_and_not1_b32 exec_lo, exec_lo, s1
	s_cbranch_execnz .LBB6_42
; %bb.43:
	s_or_b32 exec_lo, exec_lo, s1
.LBB6_44:
	s_delay_alu instid0(SALU_CYCLE_1) | instskip(SKIP_2) | instid1(VALU_DEP_2)
	s_or_b32 exec_lo, exec_lo, s0
	v_add_nc_u32_e32 v2, 64, v4
	v_cmp_gt_i32_e32 vcc_lo, 64, v3
                                        ; implicit-def: $vgpr7
	v_dual_sub_nc_u32 v4, v2, v3 :: v_dual_lshlrev_b32 v2, 2, v3
	s_delay_alu instid0(VALU_DEP_1)
	v_lshlrev_b32_e32 v8, 2, v4
	v_cmp_lt_i32_e64 s1, 0x7f, v4
	ds_load_b32 v6, v2
	ds_load_b32 v5, v8
	s_wait_dscnt 0x0
	v_cmp_ngt_f32_e64 s0, v5, v6
	s_and_b32 s0, vcc_lo, s0
	s_delay_alu instid0(SALU_CYCLE_1) | instskip(NEXT) | instid1(SALU_CYCLE_1)
	s_or_b32 s0, s1, s0
	s_and_saveexec_b32 s1, s0
	s_delay_alu instid0(SALU_CYCLE_1)
	s_xor_b32 s0, exec_lo, s1
; %bb.45:
	ds_load_b32 v7, v2 offset:4
	v_add_nc_u32_e32 v3, 1, v3
                                        ; implicit-def: $vgpr8
; %bb.46:
	s_or_saveexec_b32 s0, s0
	v_mov_b32_e32 v2, v6
	s_xor_b32 exec_lo, exec_lo, s0
	s_cbranch_execz .LBB6_48
; %bb.47:
	ds_load_b32 v8, v8 offset:4
	v_dual_add_nc_u32 v4, 1, v4 :: v_dual_mov_b32 v2, v5
	s_wait_dscnt 0x0
	v_dual_mov_b32 v7, v6 :: v_dual_mov_b32 v5, v8
.LBB6_48:
	s_or_b32 exec_lo, exec_lo, s0
	v_cmp_le_i32_e32 vcc_lo, 64, v3
	s_wait_dscnt 0x0
	s_delay_alu instid0(VALU_DEP_2) | instskip(SKIP_2) | instid1(SALU_CYCLE_1)
	v_cmp_gt_f32_e64 s0, v5, v7
	v_cmp_gt_i32_e64 s1, 0x80, v4
	s_or_b32 s0, vcc_lo, s0
	s_and_b32 vcc_lo, s1, s0
	v_cndmask_b32_e32 v3, v7, v5, vcc_lo
	global_store_b64 v[0:1], v[2:3], off
	s_endpgm
	.section	.rodata,"a",@progbits
	.p2align	6, 0x0
	.amdhsa_kernel _Z15sort_key_kernelILj64ELj2EfN10test_utils7greaterEEvPT1_T2_
		.amdhsa_group_segment_fixed_size 516
		.amdhsa_private_segment_fixed_size 0
		.amdhsa_kernarg_size 12
		.amdhsa_user_sgpr_count 2
		.amdhsa_user_sgpr_dispatch_ptr 0
		.amdhsa_user_sgpr_queue_ptr 0
		.amdhsa_user_sgpr_kernarg_segment_ptr 1
		.amdhsa_user_sgpr_dispatch_id 0
		.amdhsa_user_sgpr_kernarg_preload_length 0
		.amdhsa_user_sgpr_kernarg_preload_offset 0
		.amdhsa_user_sgpr_private_segment_size 0
		.amdhsa_wavefront_size32 1
		.amdhsa_uses_dynamic_stack 0
		.amdhsa_enable_private_segment 0
		.amdhsa_system_sgpr_workgroup_id_x 1
		.amdhsa_system_sgpr_workgroup_id_y 0
		.amdhsa_system_sgpr_workgroup_id_z 0
		.amdhsa_system_sgpr_workgroup_info 0
		.amdhsa_system_vgpr_workitem_id 0
		.amdhsa_next_free_vgpr 16
		.amdhsa_next_free_sgpr 6
		.amdhsa_named_barrier_count 0
		.amdhsa_reserve_vcc 1
		.amdhsa_float_round_mode_32 0
		.amdhsa_float_round_mode_16_64 0
		.amdhsa_float_denorm_mode_32 3
		.amdhsa_float_denorm_mode_16_64 3
		.amdhsa_fp16_overflow 0
		.amdhsa_memory_ordered 1
		.amdhsa_forward_progress 1
		.amdhsa_inst_pref_size 22
		.amdhsa_round_robin_scheduling 0
		.amdhsa_exception_fp_ieee_invalid_op 0
		.amdhsa_exception_fp_denorm_src 0
		.amdhsa_exception_fp_ieee_div_zero 0
		.amdhsa_exception_fp_ieee_overflow 0
		.amdhsa_exception_fp_ieee_underflow 0
		.amdhsa_exception_fp_ieee_inexact 0
		.amdhsa_exception_int_div_zero 0
	.end_amdhsa_kernel
	.section	.text._Z15sort_key_kernelILj64ELj2EfN10test_utils7greaterEEvPT1_T2_,"axG",@progbits,_Z15sort_key_kernelILj64ELj2EfN10test_utils7greaterEEvPT1_T2_,comdat
.Lfunc_end6:
	.size	_Z15sort_key_kernelILj64ELj2EfN10test_utils7greaterEEvPT1_T2_, .Lfunc_end6-_Z15sort_key_kernelILj64ELj2EfN10test_utils7greaterEEvPT1_T2_
                                        ; -- End function
	.set _Z15sort_key_kernelILj64ELj2EfN10test_utils7greaterEEvPT1_T2_.num_vgpr, 16
	.set _Z15sort_key_kernelILj64ELj2EfN10test_utils7greaterEEvPT1_T2_.num_agpr, 0
	.set _Z15sort_key_kernelILj64ELj2EfN10test_utils7greaterEEvPT1_T2_.numbered_sgpr, 6
	.set _Z15sort_key_kernelILj64ELj2EfN10test_utils7greaterEEvPT1_T2_.num_named_barrier, 0
	.set _Z15sort_key_kernelILj64ELj2EfN10test_utils7greaterEEvPT1_T2_.private_seg_size, 0
	.set _Z15sort_key_kernelILj64ELj2EfN10test_utils7greaterEEvPT1_T2_.uses_vcc, 1
	.set _Z15sort_key_kernelILj64ELj2EfN10test_utils7greaterEEvPT1_T2_.uses_flat_scratch, 0
	.set _Z15sort_key_kernelILj64ELj2EfN10test_utils7greaterEEvPT1_T2_.has_dyn_sized_stack, 0
	.set _Z15sort_key_kernelILj64ELj2EfN10test_utils7greaterEEvPT1_T2_.has_recursion, 0
	.set _Z15sort_key_kernelILj64ELj2EfN10test_utils7greaterEEvPT1_T2_.has_indirect_call, 0
	.section	.AMDGPU.csdata,"",@progbits
; Kernel info:
; codeLenInByte = 2784
; TotalNumSgprs: 8
; NumVgprs: 16
; ScratchSize: 0
; MemoryBound: 0
; FloatMode: 240
; IeeeMode: 1
; LDSByteSize: 516 bytes/workgroup (compile time only)
; SGPRBlocks: 0
; VGPRBlocks: 0
; NumSGPRsForWavesPerEU: 8
; NumVGPRsForWavesPerEU: 16
; NamedBarCnt: 0
; Occupancy: 16
; WaveLimiterHint : 0
; COMPUTE_PGM_RSRC2:SCRATCH_EN: 0
; COMPUTE_PGM_RSRC2:USER_SGPR: 2
; COMPUTE_PGM_RSRC2:TRAP_HANDLER: 0
; COMPUTE_PGM_RSRC2:TGID_X_EN: 1
; COMPUTE_PGM_RSRC2:TGID_Y_EN: 0
; COMPUTE_PGM_RSRC2:TGID_Z_EN: 0
; COMPUTE_PGM_RSRC2:TIDIG_COMP_CNT: 0
	.section	.text._Z15sort_key_kernelILj1024ELj1EtN10test_utils7greaterEEvPT1_T2_,"axG",@progbits,_Z15sort_key_kernelILj1024ELj1EtN10test_utils7greaterEEvPT1_T2_,comdat
	.protected	_Z15sort_key_kernelILj1024ELj1EtN10test_utils7greaterEEvPT1_T2_ ; -- Begin function _Z15sort_key_kernelILj1024ELj1EtN10test_utils7greaterEEvPT1_T2_
	.globl	_Z15sort_key_kernelILj1024ELj1EtN10test_utils7greaterEEvPT1_T2_
	.p2align	8
	.type	_Z15sort_key_kernelILj1024ELj1EtN10test_utils7greaterEEvPT1_T2_,@function
_Z15sort_key_kernelILj1024ELj1EtN10test_utils7greaterEEvPT1_T2_: ; @_Z15sort_key_kernelILj1024ELj1EtN10test_utils7greaterEEvPT1_T2_
; %bb.0:
	s_load_b64 s[0:1], s[0:1], 0x0
	s_bfe_u32 s2, ttmp6, 0x4000c
	s_and_b32 s3, ttmp6, 15
	s_add_co_i32 s2, s2, 1
	s_getreg_b32 s4, hwreg(HW_REG_IB_STS2, 6, 4)
	s_mul_i32 s2, ttmp9, s2
	v_and_b32_e32 v6, 0x3fe, v0
	s_add_co_i32 s3, s3, s2
	s_cmp_eq_u32 s4, 0
	v_dual_mov_b32 v3, 0 :: v_dual_bitop2_b32 v1, 1, v0 bitop3:0x54
	s_cselect_b32 s2, ttmp9, s3
	s_mov_b32 s3, 0
	s_lshl_b32 s2, s2, 10
	s_delay_alu instid0(VALU_DEP_1)
	v_dual_sub_nc_u32 v2, v1, v6 :: v_dual_bitop2_b32 v4, 1, v0 bitop3:0x40
	s_lshl_b64 s[4:5], s[2:3], 1
	v_dual_mov_b32 v7, v3 :: v_dual_lshlrev_b32 v8, 1, v6
	s_mov_b32 s2, exec_lo
	s_wait_kmcnt 0x0
	s_add_nc_u64 s[0:1], s[0:1], s[4:5]
	v_dual_lshlrev_b32 v2, 1, v0 :: v_dual_min_i32 v9, v4, v2
	global_load_u16 v5, v0, s[0:1] scale_offset
	s_wait_loadcnt 0x0
	s_barrier_signal -1
	s_barrier_wait -1
	ds_store_b16 v2, v5
	s_wait_dscnt 0x0
	s_barrier_signal -1
	s_barrier_wait -1
	s_wait_xcnt 0x0
	v_cmpx_lt_i32_e32 0, v9
	s_cbranch_execz .LBB7_4
; %bb.1:
	v_dual_mov_b32 v4, 1 :: v_dual_lshlrev_b32 v5, 1, v4
	v_mov_b32_e32 v7, v3
	s_delay_alu instid0(VALU_DEP_2)
	v_lshl_add_u32 v5, v1, 1, v5
.LBB7_2:                                ; =>This Inner Loop Header: Depth=1
	s_delay_alu instid0(VALU_DEP_2) | instskip(NEXT) | instid1(VALU_DEP_1)
	v_sub_nc_u32_e32 v9, v4, v7
	v_lshrrev_b32_e32 v9, 1, v9
	s_delay_alu instid0(VALU_DEP_1) | instskip(NEXT) | instid1(VALU_DEP_1)
	v_add_nc_u32_e32 v9, v9, v7
	v_not_b32_e32 v10, v9
	v_lshl_add_u32 v11, v9, 1, v8
	s_delay_alu instid0(VALU_DEP_2)
	v_lshl_add_u32 v10, v10, 1, v5
	ds_load_u16 v11, v11
	ds_load_u16 v10, v10
	s_wait_dscnt 0x0
	v_cmp_gt_u16_e32 vcc_lo, v10, v11
	v_dual_add_nc_u32 v12, 1, v9 :: v_dual_cndmask_b32 v4, v4, v9, vcc_lo
	s_delay_alu instid0(VALU_DEP_1) | instskip(NEXT) | instid1(VALU_DEP_1)
	v_cndmask_b32_e32 v7, v12, v7, vcc_lo
	v_cmp_ge_i32_e32 vcc_lo, v7, v4
	s_or_b32 s3, vcc_lo, s3
	s_delay_alu instid0(SALU_CYCLE_1)
	s_and_not1_b32 exec_lo, exec_lo, s3
	s_cbranch_execnz .LBB7_2
; %bb.3:
	s_or_b32 exec_lo, exec_lo, s3
.LBB7_4:
	s_delay_alu instid0(SALU_CYCLE_1) | instskip(SKIP_4) | instid1(VALU_DEP_4)
	s_or_b32 exec_lo, exec_lo, s2
	v_sub_nc_u32_e32 v9, v0, v7
	v_add_nc_u64_e32 v[4:5], s[0:1], v[2:3]
	v_lshl_add_u32 v3, v7, 1, v8
	v_dual_add_nc_u32 v7, v7, v6 :: v_dual_bitop2_b32 v6, 3, v0 bitop3:0x40
	v_lshlrev_b32_e32 v8, 1, v9
	ds_load_u16 v10, v3
	ds_load_u16 v11, v8 offset:2
	v_and_b32_e32 v3, 0x3fc, v0
	v_cmp_le_i32_e32 vcc_lo, v1, v7
	v_sub_nc_u32_e64 v7, v6, 2 clamp
	s_wait_dscnt 0x0
	s_delay_alu instid0(VALU_DEP_3) | instskip(SKIP_2) | instid1(VALU_DEP_1)
	v_dual_add_nc_u32 v9, 1, v9 :: v_dual_bitop2_b32 v8, 2, v3 bitop3:0x54
	s_barrier_signal -1
	s_barrier_wait -1
	v_cmp_ge_i32_e64 s1, v1, v9
	s_delay_alu instid0(VALU_DEP_2) | instskip(NEXT) | instid1(VALU_DEP_1)
	v_dual_sub_nc_u32 v12, v8, v3 :: v_dual_lshlrev_b32 v1, 1, v3
	v_min_i32_e32 v9, v6, v12
	v_cmp_gt_u16_e64 s0, v11, v10
	s_or_b32 s0, vcc_lo, s0
	s_delay_alu instid0(SALU_CYCLE_1)
	s_and_b32 vcc_lo, s1, s0
	s_mov_b32 s0, exec_lo
	v_cndmask_b32_e32 v10, v10, v11, vcc_lo
	ds_store_b16 v2, v10
	s_wait_dscnt 0x0
	s_barrier_signal -1
	s_barrier_wait -1
	v_cmpx_lt_i32_e64 v7, v9
	s_cbranch_execz .LBB7_8
; %bb.5:
	v_lshl_add_u32 v10, v6, 1, v1
	s_mov_b32 s1, 0
.LBB7_6:                                ; =>This Inner Loop Header: Depth=1
	v_sub_nc_u32_e32 v11, v9, v7
	s_delay_alu instid0(VALU_DEP_1) | instskip(NEXT) | instid1(VALU_DEP_1)
	v_lshrrev_b32_e32 v11, 1, v11
	v_add_nc_u32_e32 v11, v11, v7
	s_delay_alu instid0(VALU_DEP_1) | instskip(SKIP_1) | instid1(VALU_DEP_2)
	v_not_b32_e32 v12, v11
	v_lshl_add_u32 v13, v11, 1, v1
	v_lshl_add_u32 v12, v12, 1, v10
	ds_load_u16 v13, v13
	ds_load_u16 v12, v12 offset:4
	s_wait_dscnt 0x0
	v_cmp_gt_u16_e32 vcc_lo, v12, v13
	v_dual_cndmask_b32 v9, v9, v11 :: v_dual_add_nc_u32 v14, 1, v11
	s_delay_alu instid0(VALU_DEP_1) | instskip(NEXT) | instid1(VALU_DEP_1)
	v_cndmask_b32_e32 v7, v14, v7, vcc_lo
	v_cmp_ge_i32_e32 vcc_lo, v7, v9
	s_or_b32 s1, vcc_lo, s1
	s_delay_alu instid0(SALU_CYCLE_1)
	s_and_not1_b32 exec_lo, exec_lo, s1
	s_cbranch_execnz .LBB7_6
; %bb.7:
	s_or_b32 exec_lo, exec_lo, s1
.LBB7_8:
	s_delay_alu instid0(SALU_CYCLE_1) | instskip(SKIP_4) | instid1(VALU_DEP_4)
	s_or_b32 exec_lo, exec_lo, s0
	v_add_nc_u32_e32 v9, v3, v6
	v_lshl_add_u32 v1, v7, 1, v1
	v_cmp_lt_i32_e32 vcc_lo, 1, v7
	v_add_nc_u32_e32 v3, 4, v3
	v_sub_nc_u32_e32 v9, v9, v7
	s_delay_alu instid0(VALU_DEP_1)
	v_lshlrev_b32_e32 v9, 1, v9
	ds_load_u16 v10, v1
	ds_load_u16 v11, v9 offset:4
	v_and_b32_e32 v1, 0x3f8, v0
	v_dual_add_nc_u32 v9, v8, v6 :: v_dual_bitop2_b32 v6, 7, v0 bitop3:0x40
	s_wait_dscnt 0x0
	s_barrier_signal -1
	s_delay_alu instid0(VALU_DEP_2) | instskip(SKIP_1) | instid1(VALU_DEP_1)
	v_or_b32_e32 v8, 4, v1
	s_barrier_wait -1
	v_dual_sub_nc_u32 v12, v8, v1 :: v_dual_sub_nc_u32 v9, v9, v7
	v_sub_nc_u32_e64 v7, v6, 4 clamp
	s_delay_alu instid0(VALU_DEP_2) | instskip(NEXT) | instid1(VALU_DEP_3)
	v_cmp_gt_i32_e64 s1, v3, v9
	v_dual_lshlrev_b32 v3, 1, v1 :: v_dual_min_i32 v9, v6, v12
	v_cmp_gt_u16_e64 s0, v11, v10
	s_or_b32 s0, vcc_lo, s0
	s_delay_alu instid0(SALU_CYCLE_1)
	s_and_b32 vcc_lo, s1, s0
	s_mov_b32 s0, exec_lo
	v_cndmask_b32_e32 v10, v10, v11, vcc_lo
	ds_store_b16 v2, v10
	s_wait_dscnt 0x0
	s_barrier_signal -1
	s_barrier_wait -1
	v_cmpx_lt_i32_e64 v7, v9
	s_cbranch_execz .LBB7_12
; %bb.9:
	v_lshl_add_u32 v10, v6, 1, v3
	s_mov_b32 s1, 0
.LBB7_10:                               ; =>This Inner Loop Header: Depth=1
	v_sub_nc_u32_e32 v11, v9, v7
	s_delay_alu instid0(VALU_DEP_1) | instskip(NEXT) | instid1(VALU_DEP_1)
	v_lshrrev_b32_e32 v11, 1, v11
	v_add_nc_u32_e32 v11, v11, v7
	s_delay_alu instid0(VALU_DEP_1) | instskip(SKIP_1) | instid1(VALU_DEP_2)
	v_not_b32_e32 v12, v11
	v_lshl_add_u32 v13, v11, 1, v3
	v_lshl_add_u32 v12, v12, 1, v10
	ds_load_u16 v13, v13
	ds_load_u16 v12, v12 offset:8
	s_wait_dscnt 0x0
	v_cmp_gt_u16_e32 vcc_lo, v12, v13
	v_dual_cndmask_b32 v9, v9, v11 :: v_dual_add_nc_u32 v14, 1, v11
	s_delay_alu instid0(VALU_DEP_1) | instskip(NEXT) | instid1(VALU_DEP_1)
	v_cndmask_b32_e32 v7, v14, v7, vcc_lo
	v_cmp_ge_i32_e32 vcc_lo, v7, v9
	s_or_b32 s1, vcc_lo, s1
	s_delay_alu instid0(SALU_CYCLE_1)
	s_and_not1_b32 exec_lo, exec_lo, s1
	s_cbranch_execnz .LBB7_10
; %bb.11:
	s_or_b32 exec_lo, exec_lo, s1
.LBB7_12:
	s_delay_alu instid0(SALU_CYCLE_1) | instskip(SKIP_3) | instid1(VALU_DEP_3)
	s_or_b32 exec_lo, exec_lo, s0
	v_add_nc_u32_e32 v9, v1, v6
	v_lshl_add_u32 v3, v7, 1, v3
	v_cmp_lt_i32_e32 vcc_lo, 3, v7
	v_dual_add_nc_u32 v1, 8, v1 :: v_dual_sub_nc_u32 v9, v9, v7
	s_delay_alu instid0(VALU_DEP_1)
	v_lshlrev_b32_e32 v9, 1, v9
	ds_load_u16 v10, v3
	ds_load_u16 v11, v9 offset:8
	v_and_b32_e32 v3, 0x3f0, v0
	v_dual_add_nc_u32 v9, v8, v6 :: v_dual_bitop2_b32 v6, 15, v0 bitop3:0x40
	s_wait_dscnt 0x0
	s_barrier_signal -1
	s_delay_alu instid0(VALU_DEP_2) | instskip(SKIP_1) | instid1(VALU_DEP_1)
	v_or_b32_e32 v8, 8, v3
	s_barrier_wait -1
	v_sub_nc_u32_e32 v12, v8, v3
	v_sub_nc_u32_e32 v9, v9, v7
	v_sub_nc_u32_e64 v7, v6, 8 clamp
	s_delay_alu instid0(VALU_DEP_2) | instskip(NEXT) | instid1(VALU_DEP_4)
	v_cmp_gt_i32_e64 s1, v1, v9
	v_dual_lshlrev_b32 v1, 1, v3 :: v_dual_min_i32 v9, v6, v12
	v_cmp_gt_u16_e64 s0, v11, v10
	s_or_b32 s0, vcc_lo, s0
	s_delay_alu instid0(SALU_CYCLE_1)
	s_and_b32 vcc_lo, s1, s0
	s_mov_b32 s0, exec_lo
	v_cndmask_b32_e32 v10, v10, v11, vcc_lo
	ds_store_b16 v2, v10
	s_wait_dscnt 0x0
	s_barrier_signal -1
	s_barrier_wait -1
	v_cmpx_lt_i32_e64 v7, v9
	s_cbranch_execz .LBB7_16
; %bb.13:
	v_lshl_add_u32 v10, v6, 1, v1
	s_mov_b32 s1, 0
.LBB7_14:                               ; =>This Inner Loop Header: Depth=1
	v_sub_nc_u32_e32 v11, v9, v7
	s_delay_alu instid0(VALU_DEP_1) | instskip(NEXT) | instid1(VALU_DEP_1)
	v_lshrrev_b32_e32 v11, 1, v11
	v_add_nc_u32_e32 v11, v11, v7
	s_delay_alu instid0(VALU_DEP_1) | instskip(SKIP_1) | instid1(VALU_DEP_2)
	v_not_b32_e32 v12, v11
	v_lshl_add_u32 v13, v11, 1, v1
	v_lshl_add_u32 v12, v12, 1, v10
	ds_load_u16 v13, v13
	ds_load_u16 v12, v12 offset:16
	s_wait_dscnt 0x0
	v_cmp_gt_u16_e32 vcc_lo, v12, v13
	v_dual_cndmask_b32 v9, v9, v11 :: v_dual_add_nc_u32 v14, 1, v11
	s_delay_alu instid0(VALU_DEP_1) | instskip(NEXT) | instid1(VALU_DEP_1)
	v_cndmask_b32_e32 v7, v14, v7, vcc_lo
	v_cmp_ge_i32_e32 vcc_lo, v7, v9
	s_or_b32 s1, vcc_lo, s1
	s_delay_alu instid0(SALU_CYCLE_1)
	s_and_not1_b32 exec_lo, exec_lo, s1
	s_cbranch_execnz .LBB7_14
; %bb.15:
	s_or_b32 exec_lo, exec_lo, s1
.LBB7_16:
	s_delay_alu instid0(SALU_CYCLE_1) | instskip(SKIP_4) | instid1(VALU_DEP_4)
	s_or_b32 exec_lo, exec_lo, s0
	v_add_nc_u32_e32 v9, v3, v6
	v_lshl_add_u32 v1, v7, 1, v1
	v_cmp_lt_i32_e32 vcc_lo, 7, v7
	v_add_nc_u32_e32 v3, 16, v3
	v_sub_nc_u32_e32 v9, v9, v7
	s_delay_alu instid0(VALU_DEP_1)
	v_lshlrev_b32_e32 v9, 1, v9
	ds_load_u16 v10, v1
	ds_load_u16 v11, v9 offset:16
	v_and_b32_e32 v1, 0x3e0, v0
	v_dual_add_nc_u32 v9, v8, v6 :: v_dual_bitop2_b32 v6, 31, v0 bitop3:0x40
	s_wait_dscnt 0x0
	s_barrier_signal -1
	s_delay_alu instid0(VALU_DEP_2) | instskip(SKIP_1) | instid1(VALU_DEP_1)
	v_or_b32_e32 v8, 16, v1
	s_barrier_wait -1
	v_dual_sub_nc_u32 v12, v8, v1 :: v_dual_sub_nc_u32 v9, v9, v7
	v_sub_nc_u32_e64 v7, v6, 16 clamp
	s_delay_alu instid0(VALU_DEP_2) | instskip(NEXT) | instid1(VALU_DEP_3)
	v_cmp_gt_i32_e64 s1, v3, v9
	v_dual_lshlrev_b32 v3, 1, v1 :: v_dual_min_i32 v9, v6, v12
	v_cmp_gt_u16_e64 s0, v11, v10
	s_or_b32 s0, vcc_lo, s0
	s_delay_alu instid0(SALU_CYCLE_1)
	s_and_b32 vcc_lo, s1, s0
	s_mov_b32 s0, exec_lo
	v_cndmask_b32_e32 v10, v10, v11, vcc_lo
	ds_store_b16 v2, v10
	s_wait_dscnt 0x0
	s_barrier_signal -1
	s_barrier_wait -1
	v_cmpx_lt_i32_e64 v7, v9
	s_cbranch_execz .LBB7_20
; %bb.17:
	v_lshl_add_u32 v10, v6, 1, v3
	s_mov_b32 s1, 0
.LBB7_18:                               ; =>This Inner Loop Header: Depth=1
	v_sub_nc_u32_e32 v11, v9, v7
	s_delay_alu instid0(VALU_DEP_1) | instskip(NEXT) | instid1(VALU_DEP_1)
	v_lshrrev_b32_e32 v11, 1, v11
	v_add_nc_u32_e32 v11, v11, v7
	s_delay_alu instid0(VALU_DEP_1) | instskip(SKIP_1) | instid1(VALU_DEP_2)
	v_not_b32_e32 v12, v11
	v_lshl_add_u32 v13, v11, 1, v3
	v_lshl_add_u32 v12, v12, 1, v10
	ds_load_u16 v13, v13
	ds_load_u16 v12, v12 offset:32
	s_wait_dscnt 0x0
	v_cmp_gt_u16_e32 vcc_lo, v12, v13
	v_dual_cndmask_b32 v9, v9, v11 :: v_dual_add_nc_u32 v14, 1, v11
	s_delay_alu instid0(VALU_DEP_1) | instskip(NEXT) | instid1(VALU_DEP_1)
	v_cndmask_b32_e32 v7, v14, v7, vcc_lo
	v_cmp_ge_i32_e32 vcc_lo, v7, v9
	s_or_b32 s1, vcc_lo, s1
	s_delay_alu instid0(SALU_CYCLE_1)
	s_and_not1_b32 exec_lo, exec_lo, s1
	s_cbranch_execnz .LBB7_18
; %bb.19:
	s_or_b32 exec_lo, exec_lo, s1
.LBB7_20:
	s_delay_alu instid0(SALU_CYCLE_1) | instskip(SKIP_3) | instid1(VALU_DEP_3)
	s_or_b32 exec_lo, exec_lo, s0
	v_add_nc_u32_e32 v9, v1, v6
	v_lshl_add_u32 v3, v7, 1, v3
	v_cmp_lt_i32_e32 vcc_lo, 15, v7
	v_dual_add_nc_u32 v1, 32, v1 :: v_dual_sub_nc_u32 v9, v9, v7
	s_delay_alu instid0(VALU_DEP_1)
	v_lshlrev_b32_e32 v9, 1, v9
	ds_load_u16 v10, v3
	ds_load_u16 v11, v9 offset:32
	v_and_b32_e32 v3, 0x3c0, v0
	v_dual_add_nc_u32 v9, v8, v6 :: v_dual_bitop2_b32 v6, 63, v0 bitop3:0x40
	s_wait_dscnt 0x0
	s_barrier_signal -1
	s_delay_alu instid0(VALU_DEP_2) | instskip(SKIP_1) | instid1(VALU_DEP_1)
	v_or_b32_e32 v8, 32, v3
	s_barrier_wait -1
	v_sub_nc_u32_e32 v12, v8, v3
	v_sub_nc_u32_e32 v9, v9, v7
	v_sub_nc_u32_e64 v7, v6, 32 clamp
	s_delay_alu instid0(VALU_DEP_2) | instskip(NEXT) | instid1(VALU_DEP_4)
	v_cmp_gt_i32_e64 s1, v1, v9
	v_dual_lshlrev_b32 v1, 1, v3 :: v_dual_min_i32 v9, v6, v12
	v_cmp_gt_u16_e64 s0, v11, v10
	s_or_b32 s0, vcc_lo, s0
	s_delay_alu instid0(SALU_CYCLE_1)
	s_and_b32 vcc_lo, s1, s0
	s_mov_b32 s0, exec_lo
	v_cndmask_b32_e32 v10, v10, v11, vcc_lo
	ds_store_b16 v2, v10
	s_wait_dscnt 0x0
	s_barrier_signal -1
	s_barrier_wait -1
	v_cmpx_lt_i32_e64 v7, v9
	s_cbranch_execz .LBB7_24
; %bb.21:
	v_lshl_add_u32 v10, v6, 1, v1
	s_mov_b32 s1, 0
.LBB7_22:                               ; =>This Inner Loop Header: Depth=1
	v_sub_nc_u32_e32 v11, v9, v7
	s_delay_alu instid0(VALU_DEP_1) | instskip(NEXT) | instid1(VALU_DEP_1)
	v_lshrrev_b32_e32 v11, 1, v11
	v_add_nc_u32_e32 v11, v11, v7
	s_delay_alu instid0(VALU_DEP_1) | instskip(SKIP_1) | instid1(VALU_DEP_2)
	v_not_b32_e32 v12, v11
	v_lshl_add_u32 v13, v11, 1, v1
	v_lshl_add_u32 v12, v12, 1, v10
	ds_load_u16 v13, v13
	ds_load_u16 v12, v12 offset:64
	s_wait_dscnt 0x0
	v_cmp_gt_u16_e32 vcc_lo, v12, v13
	v_dual_cndmask_b32 v9, v9, v11 :: v_dual_add_nc_u32 v14, 1, v11
	s_delay_alu instid0(VALU_DEP_1) | instskip(NEXT) | instid1(VALU_DEP_1)
	v_cndmask_b32_e32 v7, v14, v7, vcc_lo
	v_cmp_ge_i32_e32 vcc_lo, v7, v9
	s_or_b32 s1, vcc_lo, s1
	s_delay_alu instid0(SALU_CYCLE_1)
	s_and_not1_b32 exec_lo, exec_lo, s1
	s_cbranch_execnz .LBB7_22
; %bb.23:
	s_or_b32 exec_lo, exec_lo, s1
.LBB7_24:
	s_delay_alu instid0(SALU_CYCLE_1) | instskip(SKIP_3) | instid1(VALU_DEP_3)
	s_or_b32 exec_lo, exec_lo, s0
	v_dual_add_nc_u32 v9, v3, v6 :: v_dual_add_nc_u32 v3, 64, v3
	v_lshl_add_u32 v1, v7, 1, v1
	v_cmp_lt_i32_e32 vcc_lo, 31, v7
	v_sub_nc_u32_e32 v9, v9, v7
	s_delay_alu instid0(VALU_DEP_1)
	v_lshlrev_b32_e32 v9, 1, v9
	ds_load_u16 v10, v1
	ds_load_u16 v11, v9 offset:64
	v_and_b32_e32 v1, 0x380, v0
	v_add_nc_u32_e32 v9, v8, v6
	v_and_b32_e32 v6, 0x7f, v0
	s_wait_dscnt 0x0
	s_barrier_signal -1
	v_or_b32_e32 v8, 64, v1
	s_barrier_wait -1
	s_delay_alu instid0(VALU_DEP_1) | instskip(SKIP_1) | instid1(VALU_DEP_2)
	v_dual_sub_nc_u32 v12, v8, v1 :: v_dual_sub_nc_u32 v9, v9, v7
	v_sub_nc_u32_e64 v7, v6, 64 clamp
	v_cmp_gt_i32_e64 s1, v3, v9
	s_delay_alu instid0(VALU_DEP_3) | instskip(SKIP_2) | instid1(SALU_CYCLE_1)
	v_dual_lshlrev_b32 v3, 1, v1 :: v_dual_min_i32 v9, v6, v12
	v_cmp_gt_u16_e64 s0, v11, v10
	s_or_b32 s0, vcc_lo, s0
	s_and_b32 vcc_lo, s1, s0
	s_mov_b32 s0, exec_lo
	v_cndmask_b32_e32 v10, v10, v11, vcc_lo
	ds_store_b16 v2, v10
	s_wait_dscnt 0x0
	s_barrier_signal -1
	s_barrier_wait -1
	v_cmpx_lt_i32_e64 v7, v9
	s_cbranch_execz .LBB7_28
; %bb.25:
	v_lshl_add_u32 v10, v6, 1, v3
	s_mov_b32 s1, 0
.LBB7_26:                               ; =>This Inner Loop Header: Depth=1
	v_sub_nc_u32_e32 v11, v9, v7
	s_delay_alu instid0(VALU_DEP_1) | instskip(NEXT) | instid1(VALU_DEP_1)
	v_lshrrev_b32_e32 v11, 1, v11
	v_add_nc_u32_e32 v11, v11, v7
	s_delay_alu instid0(VALU_DEP_1) | instskip(SKIP_1) | instid1(VALU_DEP_2)
	v_not_b32_e32 v12, v11
	v_lshl_add_u32 v13, v11, 1, v3
	v_lshl_add_u32 v12, v12, 1, v10
	ds_load_u16 v13, v13
	ds_load_u16 v12, v12 offset:128
	s_wait_dscnt 0x0
	v_cmp_gt_u16_e32 vcc_lo, v12, v13
	v_dual_cndmask_b32 v9, v9, v11 :: v_dual_add_nc_u32 v14, 1, v11
	s_delay_alu instid0(VALU_DEP_1) | instskip(NEXT) | instid1(VALU_DEP_1)
	v_cndmask_b32_e32 v7, v14, v7, vcc_lo
	v_cmp_ge_i32_e32 vcc_lo, v7, v9
	s_or_b32 s1, vcc_lo, s1
	s_delay_alu instid0(SALU_CYCLE_1)
	s_and_not1_b32 exec_lo, exec_lo, s1
	s_cbranch_execnz .LBB7_26
; %bb.27:
	s_or_b32 exec_lo, exec_lo, s1
.LBB7_28:
	s_delay_alu instid0(SALU_CYCLE_1) | instskip(SKIP_4) | instid1(VALU_DEP_4)
	s_or_b32 exec_lo, exec_lo, s0
	v_add_nc_u32_e32 v9, v1, v6
	v_lshl_add_u32 v3, v7, 1, v3
	v_add_nc_u32_e32 v12, 0x80, v1
	v_cmp_lt_i32_e32 vcc_lo, 63, v7
	v_sub_nc_u32_e32 v9, v9, v7
	s_delay_alu instid0(VALU_DEP_1)
	v_lshlrev_b32_e32 v9, 1, v9
	ds_load_u16 v10, v3
	ds_load_u16 v11, v9 offset:128
	v_add_nc_u32_e32 v9, v8, v6
	v_and_b32_e32 v3, 0x300, v0
	v_and_b32_e32 v6, 0xff, v0
	s_wait_dscnt 0x0
	s_barrier_signal -1
	v_sub_nc_u32_e32 v9, v9, v7
	v_or_b32_e32 v8, 0x80, v3
	v_subrev_nc_u32_e64 v1, 0x80, v6 clamp
	v_lshlrev_b32_e32 v7, 1, v3
	s_barrier_wait -1
	v_cmp_gt_i32_e64 s1, v12, v9
	v_sub_nc_u32_e32 v13, v8, v3
	s_delay_alu instid0(VALU_DEP_1) | instskip(SKIP_2) | instid1(SALU_CYCLE_1)
	v_min_i32_e32 v9, v6, v13
	v_cmp_gt_u16_e64 s0, v11, v10
	s_or_b32 s0, vcc_lo, s0
	s_and_b32 vcc_lo, s1, s0
	s_mov_b32 s0, exec_lo
	v_cndmask_b32_e32 v10, v10, v11, vcc_lo
	ds_store_b16 v2, v10
	s_wait_dscnt 0x0
	s_barrier_signal -1
	s_barrier_wait -1
	v_cmpx_lt_i32_e64 v1, v9
	s_cbranch_execz .LBB7_32
; %bb.29:
	v_lshl_add_u32 v10, v6, 1, v7
	s_mov_b32 s1, 0
.LBB7_30:                               ; =>This Inner Loop Header: Depth=1
	v_sub_nc_u32_e32 v11, v9, v1
	s_delay_alu instid0(VALU_DEP_1) | instskip(NEXT) | instid1(VALU_DEP_1)
	v_lshrrev_b32_e32 v11, 1, v11
	v_add_nc_u32_e32 v11, v11, v1
	s_delay_alu instid0(VALU_DEP_1) | instskip(SKIP_1) | instid1(VALU_DEP_2)
	v_not_b32_e32 v12, v11
	v_lshl_add_u32 v13, v11, 1, v7
	v_lshl_add_u32 v12, v12, 1, v10
	ds_load_u16 v13, v13
	ds_load_u16 v12, v12 offset:256
	s_wait_dscnt 0x0
	v_cmp_gt_u16_e32 vcc_lo, v12, v13
	v_dual_cndmask_b32 v9, v9, v11 :: v_dual_add_nc_u32 v14, 1, v11
	s_delay_alu instid0(VALU_DEP_1) | instskip(NEXT) | instid1(VALU_DEP_1)
	v_cndmask_b32_e32 v1, v14, v1, vcc_lo
	v_cmp_ge_i32_e32 vcc_lo, v1, v9
	s_or_b32 s1, vcc_lo, s1
	s_delay_alu instid0(SALU_CYCLE_1)
	s_and_not1_b32 exec_lo, exec_lo, s1
	s_cbranch_execnz .LBB7_30
; %bb.31:
	s_or_b32 exec_lo, exec_lo, s1
.LBB7_32:
	s_delay_alu instid0(SALU_CYCLE_1) | instskip(SKIP_4) | instid1(VALU_DEP_4)
	s_or_b32 exec_lo, exec_lo, s0
	v_dual_add_nc_u32 v9, v3, v6 :: v_dual_add_nc_u32 v8, v8, v6
	v_lshl_add_u32 v7, v1, 1, v7
	v_cmp_lt_i32_e32 vcc_lo, 0x7f, v1
	v_and_b32_e32 v6, 0x1ff, v0
	v_dual_sub_nc_u32 v9, v9, v1 :: v_dual_sub_nc_u32 v8, v8, v1
	s_delay_alu instid0(VALU_DEP_2) | instskip(NEXT) | instid1(VALU_DEP_2)
	v_subrev_nc_u32_e64 v1, 0x100, v6 clamp
	v_lshlrev_b32_e32 v9, 1, v9
	ds_load_u16 v10, v7
	ds_load_u16 v11, v9 offset:256
	v_and_b32_e32 v7, 0x200, v0
	v_add_nc_u32_e32 v9, 0x100, v3
	s_wait_dscnt 0x0
	s_barrier_signal -1
	s_barrier_wait -1
	v_or_b32_e32 v3, 0x100, v7
	v_cmp_gt_i32_e64 s1, v9, v8
	s_delay_alu instid0(VALU_DEP_2) | instskip(NEXT) | instid1(VALU_DEP_1)
	v_dual_sub_nc_u32 v12, v3, v7 :: v_dual_lshlrev_b32 v8, 1, v7
	v_min_i32_e32 v9, v6, v12
	v_cmp_gt_u16_e64 s0, v11, v10
	s_or_b32 s0, vcc_lo, s0
	s_delay_alu instid0(SALU_CYCLE_1)
	s_and_b32 vcc_lo, s1, s0
	s_mov_b32 s0, exec_lo
	v_cndmask_b32_e32 v10, v10, v11, vcc_lo
	ds_store_b16 v2, v10
	s_wait_dscnt 0x0
	s_barrier_signal -1
	s_barrier_wait -1
	v_cmpx_lt_i32_e64 v1, v9
	s_cbranch_execz .LBB7_36
; %bb.33:
	v_lshl_add_u32 v10, v6, 1, v8
	s_mov_b32 s1, 0
.LBB7_34:                               ; =>This Inner Loop Header: Depth=1
	v_sub_nc_u32_e32 v11, v9, v1
	s_delay_alu instid0(VALU_DEP_1) | instskip(NEXT) | instid1(VALU_DEP_1)
	v_lshrrev_b32_e32 v11, 1, v11
	v_add_nc_u32_e32 v11, v11, v1
	s_delay_alu instid0(VALU_DEP_1) | instskip(SKIP_1) | instid1(VALU_DEP_2)
	v_not_b32_e32 v12, v11
	v_lshl_add_u32 v13, v11, 1, v8
	v_lshl_add_u32 v12, v12, 1, v10
	ds_load_u16 v13, v13
	ds_load_u16 v12, v12 offset:512
	s_wait_dscnt 0x0
	v_cmp_gt_u16_e32 vcc_lo, v12, v13
	v_dual_cndmask_b32 v9, v9, v11 :: v_dual_add_nc_u32 v14, 1, v11
	s_delay_alu instid0(VALU_DEP_1) | instskip(NEXT) | instid1(VALU_DEP_1)
	v_cndmask_b32_e32 v1, v14, v1, vcc_lo
	v_cmp_ge_i32_e32 vcc_lo, v1, v9
	s_or_b32 s1, vcc_lo, s1
	s_delay_alu instid0(SALU_CYCLE_1)
	s_and_not1_b32 exec_lo, exec_lo, s1
	s_cbranch_execnz .LBB7_34
; %bb.35:
	s_or_b32 exec_lo, exec_lo, s1
.LBB7_36:
	s_delay_alu instid0(SALU_CYCLE_1)
	s_or_b32 exec_lo, exec_lo, s0
	v_add_nc_u32_e32 v9, v7, v6
	v_lshl_add_u32 v8, v1, 1, v8
	v_cmp_lt_i32_e32 vcc_lo, 0xff, v1
	v_add_nc_u32_e32 v3, v3, v6
	v_add_nc_u32_e32 v6, 0x200, v7
	s_delay_alu instid0(VALU_DEP_2) | instskip(SKIP_1) | instid1(VALU_DEP_2)
	v_dual_sub_nc_u32 v9, v9, v1 :: v_dual_sub_nc_u32 v7, v3, v1
	v_subrev_nc_u32_e64 v1, 0x200, v0 clamp
	v_lshlrev_b32_e32 v9, 1, v9
	v_min_u32_e32 v3, 0x200, v0
	ds_load_u16 v8, v8
	ds_load_u16 v9, v9 offset:512
	v_cmp_gt_i32_e64 s1, v6, v7
	s_wait_dscnt 0x0
	s_barrier_signal -1
	s_barrier_wait -1
	v_cmp_gt_u16_e64 s0, v9, v8
	s_or_b32 s0, vcc_lo, s0
	s_delay_alu instid0(SALU_CYCLE_1) | instskip(NEXT) | instid1(SALU_CYCLE_1)
	s_and_b32 s0, s1, s0
	v_cndmask_b32_e64 v6, v8, v9, s0
	s_mov_b32 s0, exec_lo
	ds_store_b16 v2, v6
	s_wait_dscnt 0x0
	s_barrier_signal -1
	s_barrier_wait -1
	v_cmpx_lt_u32_e64 v1, v3
	s_cbranch_execz .LBB7_40
; %bb.37:
	s_mov_b32 s1, 0
.LBB7_38:                               ; =>This Inner Loop Header: Depth=1
	v_sub_nc_u32_e32 v6, v3, v1
	s_delay_alu instid0(VALU_DEP_1) | instskip(NEXT) | instid1(VALU_DEP_1)
	v_lshrrev_b32_e32 v6, 1, v6
	v_add_nc_u32_e32 v6, v6, v1
	s_delay_alu instid0(VALU_DEP_1) | instskip(SKIP_1) | instid1(VALU_DEP_2)
	v_not_b32_e32 v7, v6
	v_dual_lshlrev_b32 v8, 1, v6 :: v_dual_add_nc_u32 v9, 1, v6
	v_lshl_add_u32 v7, v7, 1, v2
	ds_load_u16 v8, v8
	ds_load_u16 v7, v7 offset:1024
	s_wait_dscnt 0x0
	v_cmp_gt_u16_e32 vcc_lo, v7, v8
	v_dual_cndmask_b32 v3, v3, v6, vcc_lo :: v_dual_cndmask_b32 v1, v9, v1, vcc_lo
	s_delay_alu instid0(VALU_DEP_1) | instskip(SKIP_1) | instid1(SALU_CYCLE_1)
	v_cmp_ge_i32_e32 vcc_lo, v1, v3
	s_or_b32 s1, vcc_lo, s1
	s_and_not1_b32 exec_lo, exec_lo, s1
	s_cbranch_execnz .LBB7_38
; %bb.39:
	s_or_b32 exec_lo, exec_lo, s1
.LBB7_40:
	s_delay_alu instid0(SALU_CYCLE_1) | instskip(SKIP_2) | instid1(VALU_DEP_2)
	s_or_b32 exec_lo, exec_lo, s0
	v_dual_sub_nc_u32 v0, v0, v1 :: v_dual_lshlrev_b32 v2, 1, v1
	v_cmp_lt_i32_e32 vcc_lo, 0x1ff, v1
	v_lshlrev_b32_e32 v3, 1, v0
	v_add_nc_u32_e32 v0, 0x200, v0
	ds_load_u16 v2, v2
	ds_load_u16 v3, v3 offset:1024
	v_cmp_gt_i32_e64 s1, 0x400, v0
	s_wait_dscnt 0x0
	v_cmp_gt_u16_e64 s0, v3, v2
	s_or_b32 s0, vcc_lo, s0
	s_delay_alu instid0(SALU_CYCLE_1)
	s_and_b32 vcc_lo, s1, s0
	v_cndmask_b32_e32 v0, v2, v3, vcc_lo
	global_store_b16 v[4:5], v0, off
	s_endpgm
	.section	.rodata,"a",@progbits
	.p2align	6, 0x0
	.amdhsa_kernel _Z15sort_key_kernelILj1024ELj1EtN10test_utils7greaterEEvPT1_T2_
		.amdhsa_group_segment_fixed_size 2050
		.amdhsa_private_segment_fixed_size 0
		.amdhsa_kernarg_size 12
		.amdhsa_user_sgpr_count 2
		.amdhsa_user_sgpr_dispatch_ptr 0
		.amdhsa_user_sgpr_queue_ptr 0
		.amdhsa_user_sgpr_kernarg_segment_ptr 1
		.amdhsa_user_sgpr_dispatch_id 0
		.amdhsa_user_sgpr_kernarg_preload_length 0
		.amdhsa_user_sgpr_kernarg_preload_offset 0
		.amdhsa_user_sgpr_private_segment_size 0
		.amdhsa_wavefront_size32 1
		.amdhsa_uses_dynamic_stack 0
		.amdhsa_enable_private_segment 0
		.amdhsa_system_sgpr_workgroup_id_x 1
		.amdhsa_system_sgpr_workgroup_id_y 0
		.amdhsa_system_sgpr_workgroup_id_z 0
		.amdhsa_system_sgpr_workgroup_info 0
		.amdhsa_system_vgpr_workitem_id 0
		.amdhsa_next_free_vgpr 15
		.amdhsa_next_free_sgpr 6
		.amdhsa_named_barrier_count 0
		.amdhsa_reserve_vcc 1
		.amdhsa_float_round_mode_32 0
		.amdhsa_float_round_mode_16_64 0
		.amdhsa_float_denorm_mode_32 3
		.amdhsa_float_denorm_mode_16_64 3
		.amdhsa_fp16_overflow 0
		.amdhsa_memory_ordered 1
		.amdhsa_forward_progress 1
		.amdhsa_inst_pref_size 26
		.amdhsa_round_robin_scheduling 0
		.amdhsa_exception_fp_ieee_invalid_op 0
		.amdhsa_exception_fp_denorm_src 0
		.amdhsa_exception_fp_ieee_div_zero 0
		.amdhsa_exception_fp_ieee_overflow 0
		.amdhsa_exception_fp_ieee_underflow 0
		.amdhsa_exception_fp_ieee_inexact 0
		.amdhsa_exception_int_div_zero 0
	.end_amdhsa_kernel
	.section	.text._Z15sort_key_kernelILj1024ELj1EtN10test_utils7greaterEEvPT1_T2_,"axG",@progbits,_Z15sort_key_kernelILj1024ELj1EtN10test_utils7greaterEEvPT1_T2_,comdat
.Lfunc_end7:
	.size	_Z15sort_key_kernelILj1024ELj1EtN10test_utils7greaterEEvPT1_T2_, .Lfunc_end7-_Z15sort_key_kernelILj1024ELj1EtN10test_utils7greaterEEvPT1_T2_
                                        ; -- End function
	.set _Z15sort_key_kernelILj1024ELj1EtN10test_utils7greaterEEvPT1_T2_.num_vgpr, 15
	.set _Z15sort_key_kernelILj1024ELj1EtN10test_utils7greaterEEvPT1_T2_.num_agpr, 0
	.set _Z15sort_key_kernelILj1024ELj1EtN10test_utils7greaterEEvPT1_T2_.numbered_sgpr, 6
	.set _Z15sort_key_kernelILj1024ELj1EtN10test_utils7greaterEEvPT1_T2_.num_named_barrier, 0
	.set _Z15sort_key_kernelILj1024ELj1EtN10test_utils7greaterEEvPT1_T2_.private_seg_size, 0
	.set _Z15sort_key_kernelILj1024ELj1EtN10test_utils7greaterEEvPT1_T2_.uses_vcc, 1
	.set _Z15sort_key_kernelILj1024ELj1EtN10test_utils7greaterEEvPT1_T2_.uses_flat_scratch, 0
	.set _Z15sort_key_kernelILj1024ELj1EtN10test_utils7greaterEEvPT1_T2_.has_dyn_sized_stack, 0
	.set _Z15sort_key_kernelILj1024ELj1EtN10test_utils7greaterEEvPT1_T2_.has_recursion, 0
	.set _Z15sort_key_kernelILj1024ELj1EtN10test_utils7greaterEEvPT1_T2_.has_indirect_call, 0
	.section	.AMDGPU.csdata,"",@progbits
; Kernel info:
; codeLenInByte = 3248
; TotalNumSgprs: 8
; NumVgprs: 15
; ScratchSize: 0
; MemoryBound: 0
; FloatMode: 240
; IeeeMode: 1
; LDSByteSize: 2050 bytes/workgroup (compile time only)
; SGPRBlocks: 0
; VGPRBlocks: 0
; NumSGPRsForWavesPerEU: 8
; NumVGPRsForWavesPerEU: 15
; NamedBarCnt: 0
; Occupancy: 16
; WaveLimiterHint : 0
; COMPUTE_PGM_RSRC2:SCRATCH_EN: 0
; COMPUTE_PGM_RSRC2:USER_SGPR: 2
; COMPUTE_PGM_RSRC2:TRAP_HANDLER: 0
; COMPUTE_PGM_RSRC2:TGID_X_EN: 1
; COMPUTE_PGM_RSRC2:TGID_Y_EN: 0
; COMPUTE_PGM_RSRC2:TGID_Z_EN: 0
; COMPUTE_PGM_RSRC2:TIDIG_COMP_CNT: 0
	.section	.text._Z15sort_key_kernelILj256ELj1EjN10test_utils4lessEEvPT1_T2_,"axG",@progbits,_Z15sort_key_kernelILj256ELj1EjN10test_utils4lessEEvPT1_T2_,comdat
	.protected	_Z15sort_key_kernelILj256ELj1EjN10test_utils4lessEEvPT1_T2_ ; -- Begin function _Z15sort_key_kernelILj256ELj1EjN10test_utils4lessEEvPT1_T2_
	.globl	_Z15sort_key_kernelILj256ELj1EjN10test_utils4lessEEvPT1_T2_
	.p2align	8
	.type	_Z15sort_key_kernelILj256ELj1EjN10test_utils4lessEEvPT1_T2_,@function
_Z15sort_key_kernelILj256ELj1EjN10test_utils4lessEEvPT1_T2_: ; @_Z15sort_key_kernelILj256ELj1EjN10test_utils4lessEEvPT1_T2_
; %bb.0:
	s_load_b64 s[0:1], s[0:1], 0x0
	s_bfe_u32 s2, ttmp6, 0x4000c
	s_and_b32 s3, ttmp6, 15
	s_add_co_i32 s2, s2, 1
	s_getreg_b32 s4, hwreg(HW_REG_IB_STS2, 6, 4)
	s_mul_i32 s2, ttmp9, s2
	v_and_b32_e32 v1, 0xfe, v0
	s_add_co_i32 s3, s3, s2
	s_cmp_eq_u32 s4, 0
	v_dual_mov_b32 v3, 0 :: v_dual_bitop2_b32 v8, 1, v0 bitop3:0x40
	s_cselect_b32 s2, ttmp9, s3
	s_mov_b32 s3, 0
	s_lshl_b32 s2, s2, 8
	s_delay_alu instid0(VALU_DEP_1) | instskip(SKIP_2) | instid1(VALU_DEP_2)
	v_dual_add_nc_u32 v4, -1, v8 :: v_dual_bitop2_b32 v7, 1, v1 bitop3:0x54
	s_lshl_b64 s[4:5], s[2:3], 2
	v_cmp_lt_i32_e32 vcc_lo, 0, v8
	v_dual_lshlrev_b32 v2, 2, v0 :: v_dual_sub_nc_u32 v10, v7, v1
	s_wait_kmcnt 0x0
	s_add_nc_u64 s[0:1], s[0:1], s[4:5]
	v_dual_cndmask_b32 v6, 0, v4 :: v_dual_lshlrev_b32 v9, 2, v1
	global_load_b32 v5, v0, s[0:1] scale_offset
	v_min_i32_e32 v4, v8, v10
	s_mov_b32 s2, exec_lo
	s_wait_loadcnt 0x0
	s_barrier_signal -1
	s_barrier_wait -1
	ds_store_b32 v2, v5
	s_wait_dscnt 0x0
	s_barrier_signal -1
	s_barrier_wait -1
	s_wait_xcnt 0x0
	v_cmpx_lt_i32_e64 v6, v4
	s_cbranch_execz .LBB8_4
; %bb.1:
	v_lshlrev_b32_e32 v5, 2, v8
	s_delay_alu instid0(VALU_DEP_1)
	v_lshl_add_u32 v5, v7, 2, v5
.LBB8_2:                                ; =>This Inner Loop Header: Depth=1
	v_sub_nc_u32_e32 v10, v4, v6
	s_delay_alu instid0(VALU_DEP_1) | instskip(NEXT) | instid1(VALU_DEP_1)
	v_lshrrev_b32_e32 v10, 1, v10
	v_add_nc_u32_e32 v10, v10, v6
	s_delay_alu instid0(VALU_DEP_1) | instskip(SKIP_1) | instid1(VALU_DEP_2)
	v_not_b32_e32 v11, v10
	v_lshl_add_u32 v12, v10, 2, v9
	v_lshl_add_u32 v11, v11, 2, v5
	ds_load_b32 v12, v12
	ds_load_b32 v11, v11
	s_wait_dscnt 0x0
	v_cmp_lt_u32_e32 vcc_lo, v11, v12
	v_dual_cndmask_b32 v4, v4, v10 :: v_dual_add_nc_u32 v13, 1, v10
	s_delay_alu instid0(VALU_DEP_1) | instskip(NEXT) | instid1(VALU_DEP_1)
	v_cndmask_b32_e32 v6, v13, v6, vcc_lo
	v_cmp_ge_i32_e32 vcc_lo, v6, v4
	s_or_b32 s3, vcc_lo, s3
	s_delay_alu instid0(SALU_CYCLE_1)
	s_and_not1_b32 exec_lo, exec_lo, s3
	s_cbranch_execnz .LBB8_2
; %bb.3:
	s_or_b32 exec_lo, exec_lo, s3
.LBB8_4:
	s_delay_alu instid0(SALU_CYCLE_1) | instskip(SKIP_3) | instid1(VALU_DEP_1)
	s_or_b32 exec_lo, exec_lo, s2
	v_add_nc_u64_e32 v[4:5], s[0:1], v[2:3]
	v_add_nc_u32_e32 v3, v7, v8
	s_mov_b32 s2, 0
	v_sub_nc_u32_e32 v10, v3, v6
	v_lshl_add_u32 v3, v6, 2, v9
	s_delay_alu instid0(VALU_DEP_2) | instskip(SKIP_1) | instid1(VALU_DEP_2)
	v_dual_add_nc_u32 v9, v6, v1 :: v_dual_lshlrev_b32 v8, 2, v10
	v_cmp_ge_i32_e64 s1, v7, v10
	v_cmp_le_i32_e32 vcc_lo, v7, v9
	ds_load_b32 v11, v3
	ds_load_b32 v12, v8
	v_and_b32_e32 v3, 0xfc, v0
	s_wait_dscnt 0x0
	s_barrier_signal -1
	s_barrier_wait -1
	s_delay_alu instid0(VALU_DEP_1) | instskip(SKIP_1) | instid1(VALU_DEP_2)
	v_dual_add_nc_u32 v1, 4, v3 :: v_dual_bitop2_b32 v6, 2, v3 bitop3:0x54
	v_dual_lshlrev_b32 v9, 2, v3 :: v_dual_bitop2_b32 v8, 3, v0 bitop3:0x40
	v_dual_sub_nc_u32 v14, v6, v3 :: v_dual_sub_nc_u32 v13, v1, v6
	s_delay_alu instid0(VALU_DEP_1)
	v_dual_sub_nc_u32 v7, v8, v13 :: v_dual_min_i32 v10, v8, v14
	v_cmp_lt_u32_e64 s0, v12, v11
	s_or_b32 s0, vcc_lo, s0
	v_cmp_ge_i32_e32 vcc_lo, v8, v13
	v_cndmask_b32_e32 v7, 0, v7, vcc_lo
	s_and_b32 vcc_lo, s1, s0
	s_mov_b32 s0, exec_lo
	v_cndmask_b32_e32 v11, v11, v12, vcc_lo
	ds_store_b32 v2, v11
	s_wait_dscnt 0x0
	s_barrier_signal -1
	s_barrier_wait -1
	v_cmpx_lt_i32_e64 v7, v10
	s_cbranch_execz .LBB8_8
; %bb.5:
	v_lshlrev_b32_e32 v11, 2, v8
	s_delay_alu instid0(VALU_DEP_1)
	v_lshl_add_u32 v11, v6, 2, v11
.LBB8_6:                                ; =>This Inner Loop Header: Depth=1
	v_sub_nc_u32_e32 v12, v10, v7
	s_delay_alu instid0(VALU_DEP_1) | instskip(NEXT) | instid1(VALU_DEP_1)
	v_lshrrev_b32_e32 v12, 1, v12
	v_add_nc_u32_e32 v12, v12, v7
	s_delay_alu instid0(VALU_DEP_1) | instskip(SKIP_1) | instid1(VALU_DEP_2)
	v_not_b32_e32 v13, v12
	v_lshl_add_u32 v14, v12, 2, v9
	v_lshl_add_u32 v13, v13, 2, v11
	ds_load_b32 v14, v14
	ds_load_b32 v13, v13
	s_wait_dscnt 0x0
	v_cmp_lt_u32_e32 vcc_lo, v13, v14
	v_dual_cndmask_b32 v10, v10, v12 :: v_dual_add_nc_u32 v15, 1, v12
	s_delay_alu instid0(VALU_DEP_1) | instskip(NEXT) | instid1(VALU_DEP_1)
	v_cndmask_b32_e32 v7, v15, v7, vcc_lo
	v_cmp_ge_i32_e32 vcc_lo, v7, v10
	s_or_b32 s2, vcc_lo, s2
	s_delay_alu instid0(SALU_CYCLE_1)
	s_and_not1_b32 exec_lo, exec_lo, s2
	s_cbranch_execnz .LBB8_6
; %bb.7:
	s_or_b32 exec_lo, exec_lo, s2
.LBB8_8:
	s_delay_alu instid0(SALU_CYCLE_1) | instskip(SKIP_2) | instid1(VALU_DEP_1)
	s_or_b32 exec_lo, exec_lo, s0
	v_add_nc_u32_e32 v8, v6, v8
	s_mov_b32 s2, 0
	v_sub_nc_u32_e32 v10, v8, v7
	v_lshl_add_u32 v8, v7, 2, v9
	s_delay_alu instid0(VALU_DEP_2)
	v_lshlrev_b32_e32 v9, 2, v10
	ds_load_b32 v11, v8
	ds_load_b32 v12, v9
	v_and_b32_e32 v8, 0xf8, v0
	v_add_nc_u32_e32 v13, v7, v3
	s_wait_dscnt 0x0
	s_barrier_signal -1
	s_barrier_wait -1
	v_dual_add_nc_u32 v3, 8, v8 :: v_dual_bitop2_b32 v7, 4, v8 bitop3:0x54
	v_and_b32_e32 v9, 7, v0
	v_cmp_le_i32_e32 vcc_lo, v6, v13
	s_delay_alu instid0(VALU_DEP_3) | instskip(NEXT) | instid1(VALU_DEP_4)
	v_dual_lshlrev_b32 v6, 2, v8 :: v_dual_sub_nc_u32 v14, v7, v8
	v_sub_nc_u32_e32 v13, v3, v7
	v_cmp_gt_i32_e64 s1, v1, v10
	s_delay_alu instid0(VALU_DEP_2)
	v_dual_sub_nc_u32 v1, v9, v13 :: v_dual_min_i32 v10, v9, v14
	v_cmp_lt_u32_e64 s0, v12, v11
	s_or_b32 s0, vcc_lo, s0
	v_cmp_ge_i32_e32 vcc_lo, v9, v13
	v_cndmask_b32_e32 v1, 0, v1, vcc_lo
	s_and_b32 vcc_lo, s1, s0
	s_mov_b32 s0, exec_lo
	v_cndmask_b32_e32 v11, v11, v12, vcc_lo
	ds_store_b32 v2, v11
	s_wait_dscnt 0x0
	s_barrier_signal -1
	s_barrier_wait -1
	v_cmpx_lt_i32_e64 v1, v10
	s_cbranch_execz .LBB8_12
; %bb.9:
	v_lshlrev_b32_e32 v11, 2, v9
	s_delay_alu instid0(VALU_DEP_1)
	v_lshl_add_u32 v11, v7, 2, v11
.LBB8_10:                               ; =>This Inner Loop Header: Depth=1
	v_sub_nc_u32_e32 v12, v10, v1
	s_delay_alu instid0(VALU_DEP_1) | instskip(NEXT) | instid1(VALU_DEP_1)
	v_lshrrev_b32_e32 v12, 1, v12
	v_add_nc_u32_e32 v12, v12, v1
	s_delay_alu instid0(VALU_DEP_1) | instskip(SKIP_1) | instid1(VALU_DEP_2)
	v_not_b32_e32 v13, v12
	v_lshl_add_u32 v14, v12, 2, v6
	v_lshl_add_u32 v13, v13, 2, v11
	ds_load_b32 v14, v14
	ds_load_b32 v13, v13
	s_wait_dscnt 0x0
	v_cmp_lt_u32_e32 vcc_lo, v13, v14
	v_dual_cndmask_b32 v10, v10, v12 :: v_dual_add_nc_u32 v15, 1, v12
	s_delay_alu instid0(VALU_DEP_1) | instskip(NEXT) | instid1(VALU_DEP_1)
	v_cndmask_b32_e32 v1, v15, v1, vcc_lo
	v_cmp_ge_i32_e32 vcc_lo, v1, v10
	s_or_b32 s2, vcc_lo, s2
	s_delay_alu instid0(SALU_CYCLE_1)
	s_and_not1_b32 exec_lo, exec_lo, s2
	s_cbranch_execnz .LBB8_10
; %bb.11:
	s_or_b32 exec_lo, exec_lo, s2
.LBB8_12:
	s_delay_alu instid0(SALU_CYCLE_1) | instskip(SKIP_3) | instid1(VALU_DEP_2)
	s_or_b32 exec_lo, exec_lo, s0
	v_dual_add_nc_u32 v9, v7, v9 :: v_dual_add_nc_u32 v13, v1, v8
	v_lshl_add_u32 v6, v1, 2, v6
	s_mov_b32 s2, 0
	v_dual_sub_nc_u32 v10, v9, v1 :: v_dual_bitop2_b32 v8, 15, v0 bitop3:0x40
	s_delay_alu instid0(VALU_DEP_3) | instskip(NEXT) | instid1(VALU_DEP_2)
	v_cmp_le_i32_e32 vcc_lo, v7, v13
	v_lshlrev_b32_e32 v9, 2, v10
	v_cmp_gt_i32_e64 s1, v3, v10
	ds_load_b32 v11, v6
	ds_load_b32 v12, v9
	v_and_b32_e32 v9, 0xf0, v0
	s_wait_dscnt 0x0
	s_barrier_signal -1
	s_barrier_wait -1
	s_delay_alu instid0(VALU_DEP_1) | instskip(NEXT) | instid1(VALU_DEP_1)
	v_dual_add_nc_u32 v1, 16, v9 :: v_dual_bitop2_b32 v6, 8, v9 bitop3:0x54
	v_dual_lshlrev_b32 v7, 2, v9 :: v_dual_sub_nc_u32 v13, v1, v6
	s_delay_alu instid0(VALU_DEP_1)
	v_sub_nc_u32_e32 v3, v8, v13
	v_cmp_lt_u32_e64 s0, v12, v11
	s_or_b32 s0, vcc_lo, s0
	v_cmp_ge_i32_e32 vcc_lo, v8, v13
	v_dual_cndmask_b32 v3, 0, v3 :: v_dual_sub_nc_u32 v14, v6, v9
	s_and_b32 vcc_lo, s1, s0
	s_delay_alu instid0(VALU_DEP_1)
	v_dual_cndmask_b32 v11, v11, v12 :: v_dual_min_i32 v10, v8, v14
	s_mov_b32 s0, exec_lo
	ds_store_b32 v2, v11
	s_wait_dscnt 0x0
	s_barrier_signal -1
	s_barrier_wait -1
	v_cmpx_lt_i32_e64 v3, v10
	s_cbranch_execz .LBB8_16
; %bb.13:
	v_lshlrev_b32_e32 v11, 2, v8
	s_delay_alu instid0(VALU_DEP_1)
	v_lshl_add_u32 v11, v6, 2, v11
.LBB8_14:                               ; =>This Inner Loop Header: Depth=1
	v_sub_nc_u32_e32 v12, v10, v3
	s_delay_alu instid0(VALU_DEP_1) | instskip(NEXT) | instid1(VALU_DEP_1)
	v_lshrrev_b32_e32 v12, 1, v12
	v_add_nc_u32_e32 v12, v12, v3
	s_delay_alu instid0(VALU_DEP_1) | instskip(SKIP_1) | instid1(VALU_DEP_2)
	v_not_b32_e32 v13, v12
	v_lshl_add_u32 v14, v12, 2, v7
	v_lshl_add_u32 v13, v13, 2, v11
	ds_load_b32 v14, v14
	ds_load_b32 v13, v13
	s_wait_dscnt 0x0
	v_cmp_lt_u32_e32 vcc_lo, v13, v14
	v_dual_cndmask_b32 v10, v10, v12 :: v_dual_add_nc_u32 v15, 1, v12
	s_delay_alu instid0(VALU_DEP_1) | instskip(NEXT) | instid1(VALU_DEP_1)
	v_cndmask_b32_e32 v3, v15, v3, vcc_lo
	v_cmp_ge_i32_e32 vcc_lo, v3, v10
	s_or_b32 s2, vcc_lo, s2
	s_delay_alu instid0(SALU_CYCLE_1)
	s_and_not1_b32 exec_lo, exec_lo, s2
	s_cbranch_execnz .LBB8_14
; %bb.15:
	s_or_b32 exec_lo, exec_lo, s2
.LBB8_16:
	s_delay_alu instid0(SALU_CYCLE_1) | instskip(SKIP_3) | instid1(VALU_DEP_2)
	s_or_b32 exec_lo, exec_lo, s0
	v_dual_add_nc_u32 v8, v6, v8 :: v_dual_add_nc_u32 v13, v3, v9
	v_lshl_add_u32 v7, v3, 2, v7
	s_mov_b32 s2, 0
	v_dual_sub_nc_u32 v10, v8, v3 :: v_dual_bitop2_b32 v9, 31, v0 bitop3:0x40
	s_delay_alu instid0(VALU_DEP_3) | instskip(NEXT) | instid1(VALU_DEP_2)
	v_cmp_le_i32_e32 vcc_lo, v6, v13
	v_lshlrev_b32_e32 v8, 2, v10
	ds_load_b32 v11, v7
	ds_load_b32 v12, v8
	v_and_b32_e32 v8, 0xe0, v0
	s_wait_dscnt 0x0
	s_barrier_signal -1
	s_barrier_wait -1
	s_delay_alu instid0(VALU_DEP_1) | instskip(SKIP_2) | instid1(VALU_DEP_3)
	v_dual_add_nc_u32 v3, 32, v8 :: v_dual_bitop2_b32 v7, 16, v8 bitop3:0x54
	v_lshlrev_b32_e32 v6, 2, v8
	v_cmp_gt_i32_e64 s1, v1, v10
	v_sub_nc_u32_e32 v14, v7, v8
	s_delay_alu instid0(VALU_DEP_1) | instskip(NEXT) | instid1(VALU_DEP_1)
	v_dual_sub_nc_u32 v13, v3, v7 :: v_dual_min_i32 v10, v9, v14
	v_sub_nc_u32_e32 v1, v9, v13
	v_cmp_lt_u32_e64 s0, v12, v11
	s_or_b32 s0, vcc_lo, s0
	v_cmp_ge_i32_e32 vcc_lo, v9, v13
	v_cndmask_b32_e32 v1, 0, v1, vcc_lo
	s_and_b32 vcc_lo, s1, s0
	s_mov_b32 s0, exec_lo
	v_cndmask_b32_e32 v11, v11, v12, vcc_lo
	ds_store_b32 v2, v11
	s_wait_dscnt 0x0
	s_barrier_signal -1
	s_barrier_wait -1
	v_cmpx_lt_i32_e64 v1, v10
	s_cbranch_execz .LBB8_20
; %bb.17:
	v_lshlrev_b32_e32 v11, 2, v9
	s_delay_alu instid0(VALU_DEP_1)
	v_lshl_add_u32 v11, v7, 2, v11
.LBB8_18:                               ; =>This Inner Loop Header: Depth=1
	v_sub_nc_u32_e32 v12, v10, v1
	s_delay_alu instid0(VALU_DEP_1) | instskip(NEXT) | instid1(VALU_DEP_1)
	v_lshrrev_b32_e32 v12, 1, v12
	v_add_nc_u32_e32 v12, v12, v1
	s_delay_alu instid0(VALU_DEP_1) | instskip(SKIP_1) | instid1(VALU_DEP_2)
	v_not_b32_e32 v13, v12
	v_lshl_add_u32 v14, v12, 2, v6
	v_lshl_add_u32 v13, v13, 2, v11
	ds_load_b32 v14, v14
	ds_load_b32 v13, v13
	s_wait_dscnt 0x0
	v_cmp_lt_u32_e32 vcc_lo, v13, v14
	v_dual_cndmask_b32 v10, v10, v12 :: v_dual_add_nc_u32 v15, 1, v12
	s_delay_alu instid0(VALU_DEP_1) | instskip(NEXT) | instid1(VALU_DEP_1)
	v_cndmask_b32_e32 v1, v15, v1, vcc_lo
	v_cmp_ge_i32_e32 vcc_lo, v1, v10
	s_or_b32 s2, vcc_lo, s2
	s_delay_alu instid0(SALU_CYCLE_1)
	s_and_not1_b32 exec_lo, exec_lo, s2
	s_cbranch_execnz .LBB8_18
; %bb.19:
	s_or_b32 exec_lo, exec_lo, s2
.LBB8_20:
	s_delay_alu instid0(SALU_CYCLE_1) | instskip(SKIP_3) | instid1(VALU_DEP_2)
	s_or_b32 exec_lo, exec_lo, s0
	v_dual_add_nc_u32 v9, v7, v9 :: v_dual_add_nc_u32 v13, v1, v8
	v_lshl_add_u32 v6, v1, 2, v6
	s_mov_b32 s2, 0
	v_dual_sub_nc_u32 v10, v9, v1 :: v_dual_bitop2_b32 v8, 63, v0 bitop3:0x40
	s_delay_alu instid0(VALU_DEP_3) | instskip(NEXT) | instid1(VALU_DEP_2)
	v_cmp_le_i32_e32 vcc_lo, v7, v13
	v_lshlrev_b32_e32 v9, 2, v10
	v_cmp_gt_i32_e64 s1, v3, v10
	ds_load_b32 v11, v6
	ds_load_b32 v12, v9
	v_and_b32_e32 v9, 0xc0, v0
	s_wait_dscnt 0x0
	s_barrier_signal -1
	s_barrier_wait -1
	s_delay_alu instid0(VALU_DEP_1) | instskip(NEXT) | instid1(VALU_DEP_1)
	v_dual_add_nc_u32 v1, 64, v9 :: v_dual_bitop2_b32 v6, 32, v9 bitop3:0x54
	v_dual_lshlrev_b32 v7, 2, v9 :: v_dual_sub_nc_u32 v13, v1, v6
	s_delay_alu instid0(VALU_DEP_1)
	v_sub_nc_u32_e32 v3, v8, v13
	v_cmp_lt_u32_e64 s0, v12, v11
	s_or_b32 s0, vcc_lo, s0
	v_cmp_ge_i32_e32 vcc_lo, v8, v13
	v_dual_cndmask_b32 v3, 0, v3 :: v_dual_sub_nc_u32 v14, v6, v9
	s_and_b32 vcc_lo, s1, s0
	s_delay_alu instid0(VALU_DEP_1)
	v_dual_cndmask_b32 v11, v11, v12 :: v_dual_min_i32 v10, v8, v14
	s_mov_b32 s0, exec_lo
	ds_store_b32 v2, v11
	s_wait_dscnt 0x0
	s_barrier_signal -1
	s_barrier_wait -1
	v_cmpx_lt_i32_e64 v3, v10
	s_cbranch_execz .LBB8_24
; %bb.21:
	v_lshlrev_b32_e32 v11, 2, v8
	s_delay_alu instid0(VALU_DEP_1)
	v_lshl_add_u32 v11, v6, 2, v11
.LBB8_22:                               ; =>This Inner Loop Header: Depth=1
	v_sub_nc_u32_e32 v12, v10, v3
	s_delay_alu instid0(VALU_DEP_1) | instskip(NEXT) | instid1(VALU_DEP_1)
	v_lshrrev_b32_e32 v12, 1, v12
	v_add_nc_u32_e32 v12, v12, v3
	s_delay_alu instid0(VALU_DEP_1) | instskip(SKIP_1) | instid1(VALU_DEP_2)
	v_not_b32_e32 v13, v12
	v_lshl_add_u32 v14, v12, 2, v7
	v_lshl_add_u32 v13, v13, 2, v11
	ds_load_b32 v14, v14
	ds_load_b32 v13, v13
	s_wait_dscnt 0x0
	v_cmp_lt_u32_e32 vcc_lo, v13, v14
	v_dual_cndmask_b32 v10, v10, v12 :: v_dual_add_nc_u32 v15, 1, v12
	s_delay_alu instid0(VALU_DEP_1) | instskip(NEXT) | instid1(VALU_DEP_1)
	v_cndmask_b32_e32 v3, v15, v3, vcc_lo
	v_cmp_ge_i32_e32 vcc_lo, v3, v10
	s_or_b32 s2, vcc_lo, s2
	s_delay_alu instid0(SALU_CYCLE_1)
	s_and_not1_b32 exec_lo, exec_lo, s2
	s_cbranch_execnz .LBB8_22
; %bb.23:
	s_or_b32 exec_lo, exec_lo, s2
.LBB8_24:
	s_delay_alu instid0(SALU_CYCLE_1) | instskip(SKIP_4) | instid1(VALU_DEP_3)
	s_or_b32 exec_lo, exec_lo, s0
	v_dual_add_nc_u32 v8, v6, v8 :: v_dual_add_nc_u32 v13, v3, v9
	v_lshl_add_u32 v7, v3, 2, v7
	v_and_b32_e32 v9, 0x7f, v0
	s_mov_b32 s2, 0
	v_sub_nc_u32_e32 v10, v8, v3
	v_cmp_le_i32_e32 vcc_lo, v6, v13
	s_delay_alu instid0(VALU_DEP_2)
	v_lshlrev_b32_e32 v8, 2, v10
	ds_load_b32 v11, v7
	ds_load_b32 v12, v8
	v_and_b32_e32 v8, 0x80, v0
	s_wait_dscnt 0x0
	s_barrier_signal -1
	s_barrier_wait -1
	s_delay_alu instid0(VALU_DEP_1) | instskip(SKIP_3) | instid1(VALU_DEP_4)
	v_or_b32_e32 v7, 64, v8
	v_add_nc_u32_e32 v3, 0x80, v8
	v_lshlrev_b32_e32 v6, 2, v8
	v_cmp_gt_i32_e64 s1, v1, v10
	v_sub_nc_u32_e32 v14, v7, v8
	s_delay_alu instid0(VALU_DEP_1) | instskip(NEXT) | instid1(VALU_DEP_1)
	v_dual_sub_nc_u32 v13, v3, v7 :: v_dual_min_i32 v10, v9, v14
	v_sub_nc_u32_e32 v1, v9, v13
	v_cmp_lt_u32_e64 s0, v12, v11
	s_or_b32 s0, vcc_lo, s0
	v_cmp_ge_i32_e32 vcc_lo, v9, v13
	v_cndmask_b32_e32 v1, 0, v1, vcc_lo
	s_and_b32 vcc_lo, s1, s0
	s_mov_b32 s0, exec_lo
	v_cndmask_b32_e32 v11, v11, v12, vcc_lo
	ds_store_b32 v2, v11
	s_wait_dscnt 0x0
	s_barrier_signal -1
	s_barrier_wait -1
	v_cmpx_lt_i32_e64 v1, v10
	s_cbranch_execz .LBB8_28
; %bb.25:
	v_lshlrev_b32_e32 v11, 2, v9
	s_delay_alu instid0(VALU_DEP_1)
	v_lshl_add_u32 v11, v7, 2, v11
.LBB8_26:                               ; =>This Inner Loop Header: Depth=1
	v_sub_nc_u32_e32 v12, v10, v1
	s_delay_alu instid0(VALU_DEP_1) | instskip(NEXT) | instid1(VALU_DEP_1)
	v_lshrrev_b32_e32 v12, 1, v12
	v_add_nc_u32_e32 v12, v12, v1
	s_delay_alu instid0(VALU_DEP_1) | instskip(SKIP_1) | instid1(VALU_DEP_2)
	v_not_b32_e32 v13, v12
	v_lshl_add_u32 v14, v12, 2, v6
	v_lshl_add_u32 v13, v13, 2, v11
	ds_load_b32 v14, v14
	ds_load_b32 v13, v13
	s_wait_dscnt 0x0
	v_cmp_lt_u32_e32 vcc_lo, v13, v14
	v_dual_cndmask_b32 v10, v10, v12 :: v_dual_add_nc_u32 v15, 1, v12
	s_delay_alu instid0(VALU_DEP_1) | instskip(NEXT) | instid1(VALU_DEP_1)
	v_cndmask_b32_e32 v1, v15, v1, vcc_lo
	v_cmp_ge_i32_e32 vcc_lo, v1, v10
	s_or_b32 s2, vcc_lo, s2
	s_delay_alu instid0(SALU_CYCLE_1)
	s_and_not1_b32 exec_lo, exec_lo, s2
	s_cbranch_execnz .LBB8_26
; %bb.27:
	s_or_b32 exec_lo, exec_lo, s2
.LBB8_28:
	s_delay_alu instid0(SALU_CYCLE_1) | instskip(SKIP_2) | instid1(VALU_DEP_2)
	s_or_b32 exec_lo, exec_lo, s0
	v_add_nc_u32_e32 v9, v7, v9
	v_lshl_add_u32 v6, v1, 2, v6
	v_sub_nc_u32_e32 v9, v9, v1
	s_delay_alu instid0(VALU_DEP_1)
	v_lshlrev_b32_e32 v10, 2, v9
	v_cmp_gt_i32_e64 s1, v3, v9
	ds_load_b32 v11, v6
	ds_load_b32 v10, v10
	v_add_nc_u32_e32 v6, v1, v8
	v_subrev_nc_u32_e64 v1, 0x80, v0 clamp
	s_wait_dscnt 0x0
	s_barrier_signal -1
	s_barrier_wait -1
	v_cmp_le_i32_e32 vcc_lo, v7, v6
	v_min_i32_e32 v6, 0x80, v0
	v_cmp_lt_u32_e64 s0, v10, v11
	s_or_b32 s0, vcc_lo, s0
	s_delay_alu instid0(SALU_CYCLE_1) | instskip(NEXT) | instid1(SALU_CYCLE_1)
	s_and_b32 s0, s1, s0
	v_cndmask_b32_e64 v3, v11, v10, s0
	s_mov_b32 s0, exec_lo
	ds_store_b32 v2, v3
	s_wait_dscnt 0x0
	s_barrier_signal -1
	s_barrier_wait -1
	v_cmpx_lt_i32_e64 v1, v6
	s_cbranch_execz .LBB8_32
; %bb.29:
	v_lshl_add_u32 v2, 0x80, 2, v2
	s_mov_b32 s1, 0
.LBB8_30:                               ; =>This Inner Loop Header: Depth=1
	v_sub_nc_u32_e32 v3, v6, v1
	s_delay_alu instid0(VALU_DEP_1) | instskip(NEXT) | instid1(VALU_DEP_1)
	v_lshrrev_b32_e32 v3, 1, v3
	v_add_nc_u32_e32 v3, v3, v1
	s_delay_alu instid0(VALU_DEP_1) | instskip(SKIP_1) | instid1(VALU_DEP_2)
	v_not_b32_e32 v7, v3
	v_dual_lshlrev_b32 v8, 2, v3 :: v_dual_add_nc_u32 v9, 1, v3
	v_lshl_add_u32 v7, v7, 2, v2
	ds_load_b32 v8, v8
	ds_load_b32 v7, v7
	s_wait_dscnt 0x0
	v_cmp_lt_u32_e32 vcc_lo, v7, v8
	v_dual_cndmask_b32 v6, v6, v3 :: v_dual_cndmask_b32 v1, v9, v1
	s_delay_alu instid0(VALU_DEP_1) | instskip(SKIP_1) | instid1(SALU_CYCLE_1)
	v_cmp_ge_i32_e32 vcc_lo, v1, v6
	s_or_b32 s1, vcc_lo, s1
	s_and_not1_b32 exec_lo, exec_lo, s1
	s_cbranch_execnz .LBB8_30
; %bb.31:
	s_or_b32 exec_lo, exec_lo, s1
.LBB8_32:
	s_delay_alu instid0(SALU_CYCLE_1) | instskip(SKIP_2) | instid1(VALU_DEP_2)
	s_or_b32 exec_lo, exec_lo, s0
	v_add_nc_u32_e32 v0, 0x80, v0
	v_cmp_le_i32_e32 vcc_lo, 0x80, v1
	v_dual_lshlrev_b32 v2, 2, v1 :: v_dual_sub_nc_u32 v0, v0, v1
	s_delay_alu instid0(VALU_DEP_1)
	v_lshlrev_b32_e32 v3, 2, v0
	v_cmp_gt_i32_e64 s1, 0x100, v0
	ds_load_b32 v2, v2
	ds_load_b32 v3, v3
	s_wait_dscnt 0x0
	v_cmp_lt_u32_e64 s0, v3, v2
	s_or_b32 s0, vcc_lo, s0
	s_delay_alu instid0(SALU_CYCLE_1)
	s_and_b32 vcc_lo, s1, s0
	v_cndmask_b32_e32 v0, v2, v3, vcc_lo
	global_store_b32 v[4:5], v0, off
	s_endpgm
	.section	.rodata,"a",@progbits
	.p2align	6, 0x0
	.amdhsa_kernel _Z15sort_key_kernelILj256ELj1EjN10test_utils4lessEEvPT1_T2_
		.amdhsa_group_segment_fixed_size 1028
		.amdhsa_private_segment_fixed_size 0
		.amdhsa_kernarg_size 12
		.amdhsa_user_sgpr_count 2
		.amdhsa_user_sgpr_dispatch_ptr 0
		.amdhsa_user_sgpr_queue_ptr 0
		.amdhsa_user_sgpr_kernarg_segment_ptr 1
		.amdhsa_user_sgpr_dispatch_id 0
		.amdhsa_user_sgpr_kernarg_preload_length 0
		.amdhsa_user_sgpr_kernarg_preload_offset 0
		.amdhsa_user_sgpr_private_segment_size 0
		.amdhsa_wavefront_size32 1
		.amdhsa_uses_dynamic_stack 0
		.amdhsa_enable_private_segment 0
		.amdhsa_system_sgpr_workgroup_id_x 1
		.amdhsa_system_sgpr_workgroup_id_y 0
		.amdhsa_system_sgpr_workgroup_id_z 0
		.amdhsa_system_sgpr_workgroup_info 0
		.amdhsa_system_vgpr_workitem_id 0
		.amdhsa_next_free_vgpr 16
		.amdhsa_next_free_sgpr 6
		.amdhsa_named_barrier_count 0
		.amdhsa_reserve_vcc 1
		.amdhsa_float_round_mode_32 0
		.amdhsa_float_round_mode_16_64 0
		.amdhsa_float_denorm_mode_32 3
		.amdhsa_float_denorm_mode_16_64 3
		.amdhsa_fp16_overflow 0
		.amdhsa_memory_ordered 1
		.amdhsa_forward_progress 1
		.amdhsa_inst_pref_size 21
		.amdhsa_round_robin_scheduling 0
		.amdhsa_exception_fp_ieee_invalid_op 0
		.amdhsa_exception_fp_denorm_src 0
		.amdhsa_exception_fp_ieee_div_zero 0
		.amdhsa_exception_fp_ieee_overflow 0
		.amdhsa_exception_fp_ieee_underflow 0
		.amdhsa_exception_fp_ieee_inexact 0
		.amdhsa_exception_int_div_zero 0
	.end_amdhsa_kernel
	.section	.text._Z15sort_key_kernelILj256ELj1EjN10test_utils4lessEEvPT1_T2_,"axG",@progbits,_Z15sort_key_kernelILj256ELj1EjN10test_utils4lessEEvPT1_T2_,comdat
.Lfunc_end8:
	.size	_Z15sort_key_kernelILj256ELj1EjN10test_utils4lessEEvPT1_T2_, .Lfunc_end8-_Z15sort_key_kernelILj256ELj1EjN10test_utils4lessEEvPT1_T2_
                                        ; -- End function
	.set _Z15sort_key_kernelILj256ELj1EjN10test_utils4lessEEvPT1_T2_.num_vgpr, 16
	.set _Z15sort_key_kernelILj256ELj1EjN10test_utils4lessEEvPT1_T2_.num_agpr, 0
	.set _Z15sort_key_kernelILj256ELj1EjN10test_utils4lessEEvPT1_T2_.numbered_sgpr, 6
	.set _Z15sort_key_kernelILj256ELj1EjN10test_utils4lessEEvPT1_T2_.num_named_barrier, 0
	.set _Z15sort_key_kernelILj256ELj1EjN10test_utils4lessEEvPT1_T2_.private_seg_size, 0
	.set _Z15sort_key_kernelILj256ELj1EjN10test_utils4lessEEvPT1_T2_.uses_vcc, 1
	.set _Z15sort_key_kernelILj256ELj1EjN10test_utils4lessEEvPT1_T2_.uses_flat_scratch, 0
	.set _Z15sort_key_kernelILj256ELj1EjN10test_utils4lessEEvPT1_T2_.has_dyn_sized_stack, 0
	.set _Z15sort_key_kernelILj256ELj1EjN10test_utils4lessEEvPT1_T2_.has_recursion, 0
	.set _Z15sort_key_kernelILj256ELj1EjN10test_utils4lessEEvPT1_T2_.has_indirect_call, 0
	.section	.AMDGPU.csdata,"",@progbits
; Kernel info:
; codeLenInByte = 2684
; TotalNumSgprs: 8
; NumVgprs: 16
; ScratchSize: 0
; MemoryBound: 0
; FloatMode: 240
; IeeeMode: 1
; LDSByteSize: 1028 bytes/workgroup (compile time only)
; SGPRBlocks: 0
; VGPRBlocks: 0
; NumSGPRsForWavesPerEU: 8
; NumVGPRsForWavesPerEU: 16
; NamedBarCnt: 0
; Occupancy: 16
; WaveLimiterHint : 0
; COMPUTE_PGM_RSRC2:SCRATCH_EN: 0
; COMPUTE_PGM_RSRC2:USER_SGPR: 2
; COMPUTE_PGM_RSRC2:TRAP_HANDLER: 0
; COMPUTE_PGM_RSRC2:TGID_X_EN: 1
; COMPUTE_PGM_RSRC2:TGID_Y_EN: 0
; COMPUTE_PGM_RSRC2:TGID_Z_EN: 0
; COMPUTE_PGM_RSRC2:TIDIG_COMP_CNT: 0
	.section	.text._Z15sort_key_kernelILj128ELj1EiN10test_utils4lessEEvPT1_T2_,"axG",@progbits,_Z15sort_key_kernelILj128ELj1EiN10test_utils4lessEEvPT1_T2_,comdat
	.protected	_Z15sort_key_kernelILj128ELj1EiN10test_utils4lessEEvPT1_T2_ ; -- Begin function _Z15sort_key_kernelILj128ELj1EiN10test_utils4lessEEvPT1_T2_
	.globl	_Z15sort_key_kernelILj128ELj1EiN10test_utils4lessEEvPT1_T2_
	.p2align	8
	.type	_Z15sort_key_kernelILj128ELj1EiN10test_utils4lessEEvPT1_T2_,@function
_Z15sort_key_kernelILj128ELj1EiN10test_utils4lessEEvPT1_T2_: ; @_Z15sort_key_kernelILj128ELj1EiN10test_utils4lessEEvPT1_T2_
; %bb.0:
	s_load_b64 s[0:1], s[0:1], 0x0
	s_bfe_u32 s2, ttmp6, 0x4000c
	s_and_b32 s3, ttmp6, 15
	s_add_co_i32 s2, s2, 1
	s_getreg_b32 s4, hwreg(HW_REG_IB_STS2, 6, 4)
	s_mul_i32 s2, ttmp9, s2
	v_and_b32_e32 v1, 0x7e, v0
	s_add_co_i32 s3, s3, s2
	s_cmp_eq_u32 s4, 0
	v_dual_mov_b32 v3, 0 :: v_dual_bitop2_b32 v8, 1, v0 bitop3:0x40
	s_cselect_b32 s2, ttmp9, s3
	s_mov_b32 s3, 0
	s_lshl_b32 s2, s2, 7
	s_delay_alu instid0(VALU_DEP_1) | instskip(SKIP_2) | instid1(VALU_DEP_2)
	v_dual_add_nc_u32 v4, -1, v8 :: v_dual_bitop2_b32 v7, 1, v1 bitop3:0x54
	s_lshl_b64 s[4:5], s[2:3], 2
	v_cmp_lt_i32_e32 vcc_lo, 0, v8
	v_dual_lshlrev_b32 v2, 2, v0 :: v_dual_sub_nc_u32 v10, v7, v1
	s_wait_kmcnt 0x0
	s_add_nc_u64 s[0:1], s[0:1], s[4:5]
	v_dual_cndmask_b32 v6, 0, v4 :: v_dual_lshlrev_b32 v9, 2, v1
	global_load_b32 v5, v0, s[0:1] scale_offset
	v_min_i32_e32 v4, v8, v10
	s_mov_b32 s2, exec_lo
	s_wait_loadcnt 0x0
	s_barrier_signal -1
	s_barrier_wait -1
	ds_store_b32 v2, v5
	s_wait_dscnt 0x0
	s_barrier_signal -1
	s_barrier_wait -1
	s_wait_xcnt 0x0
	v_cmpx_lt_i32_e64 v6, v4
	s_cbranch_execz .LBB9_4
; %bb.1:
	v_lshlrev_b32_e32 v5, 2, v8
	s_delay_alu instid0(VALU_DEP_1)
	v_lshl_add_u32 v5, v7, 2, v5
.LBB9_2:                                ; =>This Inner Loop Header: Depth=1
	v_sub_nc_u32_e32 v10, v4, v6
	s_delay_alu instid0(VALU_DEP_1) | instskip(NEXT) | instid1(VALU_DEP_1)
	v_lshrrev_b32_e32 v10, 1, v10
	v_add_nc_u32_e32 v10, v10, v6
	s_delay_alu instid0(VALU_DEP_1) | instskip(SKIP_1) | instid1(VALU_DEP_2)
	v_not_b32_e32 v11, v10
	v_lshl_add_u32 v12, v10, 2, v9
	v_lshl_add_u32 v11, v11, 2, v5
	ds_load_b32 v12, v12
	ds_load_b32 v11, v11
	s_wait_dscnt 0x0
	v_cmp_lt_i32_e32 vcc_lo, v11, v12
	v_dual_cndmask_b32 v4, v4, v10 :: v_dual_add_nc_u32 v13, 1, v10
	s_delay_alu instid0(VALU_DEP_1) | instskip(NEXT) | instid1(VALU_DEP_1)
	v_cndmask_b32_e32 v6, v13, v6, vcc_lo
	v_cmp_ge_i32_e32 vcc_lo, v6, v4
	s_or_b32 s3, vcc_lo, s3
	s_delay_alu instid0(SALU_CYCLE_1)
	s_and_not1_b32 exec_lo, exec_lo, s3
	s_cbranch_execnz .LBB9_2
; %bb.3:
	s_or_b32 exec_lo, exec_lo, s3
.LBB9_4:
	s_delay_alu instid0(SALU_CYCLE_1) | instskip(SKIP_3) | instid1(VALU_DEP_1)
	s_or_b32 exec_lo, exec_lo, s2
	v_add_nc_u64_e32 v[4:5], s[0:1], v[2:3]
	v_add_nc_u32_e32 v3, v7, v8
	s_mov_b32 s2, 0
	v_sub_nc_u32_e32 v10, v3, v6
	v_lshl_add_u32 v3, v6, 2, v9
	s_delay_alu instid0(VALU_DEP_2) | instskip(SKIP_1) | instid1(VALU_DEP_2)
	v_dual_add_nc_u32 v9, v6, v1 :: v_dual_lshlrev_b32 v8, 2, v10
	v_cmp_ge_i32_e64 s1, v7, v10
	v_cmp_le_i32_e32 vcc_lo, v7, v9
	ds_load_b32 v11, v3
	ds_load_b32 v12, v8
	v_and_b32_e32 v3, 0x7c, v0
	s_wait_dscnt 0x0
	s_barrier_signal -1
	s_barrier_wait -1
	s_delay_alu instid0(VALU_DEP_1) | instskip(SKIP_1) | instid1(VALU_DEP_2)
	v_dual_add_nc_u32 v1, 4, v3 :: v_dual_bitop2_b32 v6, 2, v3 bitop3:0x54
	v_dual_lshlrev_b32 v9, 2, v3 :: v_dual_bitop2_b32 v8, 3, v0 bitop3:0x40
	v_dual_sub_nc_u32 v14, v6, v3 :: v_dual_sub_nc_u32 v13, v1, v6
	s_delay_alu instid0(VALU_DEP_1)
	v_dual_sub_nc_u32 v7, v8, v13 :: v_dual_min_i32 v10, v8, v14
	v_cmp_lt_i32_e64 s0, v12, v11
	s_or_b32 s0, vcc_lo, s0
	v_cmp_ge_i32_e32 vcc_lo, v8, v13
	v_cndmask_b32_e32 v7, 0, v7, vcc_lo
	s_and_b32 vcc_lo, s1, s0
	s_mov_b32 s0, exec_lo
	v_cndmask_b32_e32 v11, v11, v12, vcc_lo
	ds_store_b32 v2, v11
	s_wait_dscnt 0x0
	s_barrier_signal -1
	s_barrier_wait -1
	v_cmpx_lt_i32_e64 v7, v10
	s_cbranch_execz .LBB9_8
; %bb.5:
	v_lshlrev_b32_e32 v11, 2, v8
	s_delay_alu instid0(VALU_DEP_1)
	v_lshl_add_u32 v11, v6, 2, v11
.LBB9_6:                                ; =>This Inner Loop Header: Depth=1
	v_sub_nc_u32_e32 v12, v10, v7
	s_delay_alu instid0(VALU_DEP_1) | instskip(NEXT) | instid1(VALU_DEP_1)
	v_lshrrev_b32_e32 v12, 1, v12
	v_add_nc_u32_e32 v12, v12, v7
	s_delay_alu instid0(VALU_DEP_1) | instskip(SKIP_1) | instid1(VALU_DEP_2)
	v_not_b32_e32 v13, v12
	v_lshl_add_u32 v14, v12, 2, v9
	v_lshl_add_u32 v13, v13, 2, v11
	ds_load_b32 v14, v14
	ds_load_b32 v13, v13
	s_wait_dscnt 0x0
	v_cmp_lt_i32_e32 vcc_lo, v13, v14
	v_dual_cndmask_b32 v10, v10, v12 :: v_dual_add_nc_u32 v15, 1, v12
	s_delay_alu instid0(VALU_DEP_1) | instskip(NEXT) | instid1(VALU_DEP_1)
	v_cndmask_b32_e32 v7, v15, v7, vcc_lo
	v_cmp_ge_i32_e32 vcc_lo, v7, v10
	s_or_b32 s2, vcc_lo, s2
	s_delay_alu instid0(SALU_CYCLE_1)
	s_and_not1_b32 exec_lo, exec_lo, s2
	s_cbranch_execnz .LBB9_6
; %bb.7:
	s_or_b32 exec_lo, exec_lo, s2
.LBB9_8:
	s_delay_alu instid0(SALU_CYCLE_1) | instskip(SKIP_2) | instid1(VALU_DEP_1)
	s_or_b32 exec_lo, exec_lo, s0
	v_add_nc_u32_e32 v8, v6, v8
	s_mov_b32 s2, 0
	v_sub_nc_u32_e32 v10, v8, v7
	v_lshl_add_u32 v8, v7, 2, v9
	s_delay_alu instid0(VALU_DEP_2)
	v_lshlrev_b32_e32 v9, 2, v10
	ds_load_b32 v11, v8
	ds_load_b32 v12, v9
	v_and_b32_e32 v8, 0x78, v0
	v_add_nc_u32_e32 v13, v7, v3
	s_wait_dscnt 0x0
	s_barrier_signal -1
	s_barrier_wait -1
	v_dual_add_nc_u32 v3, 8, v8 :: v_dual_bitop2_b32 v7, 4, v8 bitop3:0x54
	v_and_b32_e32 v9, 7, v0
	v_cmp_le_i32_e32 vcc_lo, v6, v13
	s_delay_alu instid0(VALU_DEP_3) | instskip(NEXT) | instid1(VALU_DEP_4)
	v_dual_lshlrev_b32 v6, 2, v8 :: v_dual_sub_nc_u32 v14, v7, v8
	v_sub_nc_u32_e32 v13, v3, v7
	v_cmp_gt_i32_e64 s1, v1, v10
	s_delay_alu instid0(VALU_DEP_2)
	v_dual_sub_nc_u32 v1, v9, v13 :: v_dual_min_i32 v10, v9, v14
	v_cmp_lt_i32_e64 s0, v12, v11
	s_or_b32 s0, vcc_lo, s0
	v_cmp_ge_i32_e32 vcc_lo, v9, v13
	v_cndmask_b32_e32 v1, 0, v1, vcc_lo
	s_and_b32 vcc_lo, s1, s0
	s_mov_b32 s0, exec_lo
	v_cndmask_b32_e32 v11, v11, v12, vcc_lo
	ds_store_b32 v2, v11
	s_wait_dscnt 0x0
	s_barrier_signal -1
	s_barrier_wait -1
	v_cmpx_lt_i32_e64 v1, v10
	s_cbranch_execz .LBB9_12
; %bb.9:
	v_lshlrev_b32_e32 v11, 2, v9
	s_delay_alu instid0(VALU_DEP_1)
	v_lshl_add_u32 v11, v7, 2, v11
.LBB9_10:                               ; =>This Inner Loop Header: Depth=1
	v_sub_nc_u32_e32 v12, v10, v1
	s_delay_alu instid0(VALU_DEP_1) | instskip(NEXT) | instid1(VALU_DEP_1)
	v_lshrrev_b32_e32 v12, 1, v12
	v_add_nc_u32_e32 v12, v12, v1
	s_delay_alu instid0(VALU_DEP_1) | instskip(SKIP_1) | instid1(VALU_DEP_2)
	v_not_b32_e32 v13, v12
	v_lshl_add_u32 v14, v12, 2, v6
	v_lshl_add_u32 v13, v13, 2, v11
	ds_load_b32 v14, v14
	ds_load_b32 v13, v13
	s_wait_dscnt 0x0
	v_cmp_lt_i32_e32 vcc_lo, v13, v14
	v_dual_cndmask_b32 v10, v10, v12 :: v_dual_add_nc_u32 v15, 1, v12
	s_delay_alu instid0(VALU_DEP_1) | instskip(NEXT) | instid1(VALU_DEP_1)
	v_cndmask_b32_e32 v1, v15, v1, vcc_lo
	v_cmp_ge_i32_e32 vcc_lo, v1, v10
	s_or_b32 s2, vcc_lo, s2
	s_delay_alu instid0(SALU_CYCLE_1)
	s_and_not1_b32 exec_lo, exec_lo, s2
	s_cbranch_execnz .LBB9_10
; %bb.11:
	s_or_b32 exec_lo, exec_lo, s2
.LBB9_12:
	s_delay_alu instid0(SALU_CYCLE_1) | instskip(SKIP_3) | instid1(VALU_DEP_2)
	s_or_b32 exec_lo, exec_lo, s0
	v_dual_add_nc_u32 v9, v7, v9 :: v_dual_add_nc_u32 v13, v1, v8
	v_lshl_add_u32 v6, v1, 2, v6
	s_mov_b32 s2, 0
	v_dual_sub_nc_u32 v10, v9, v1 :: v_dual_bitop2_b32 v8, 15, v0 bitop3:0x40
	s_delay_alu instid0(VALU_DEP_3) | instskip(NEXT) | instid1(VALU_DEP_2)
	v_cmp_le_i32_e32 vcc_lo, v7, v13
	v_lshlrev_b32_e32 v9, 2, v10
	v_cmp_gt_i32_e64 s1, v3, v10
	ds_load_b32 v11, v6
	ds_load_b32 v12, v9
	v_and_b32_e32 v9, 0x70, v0
	s_wait_dscnt 0x0
	s_barrier_signal -1
	s_barrier_wait -1
	s_delay_alu instid0(VALU_DEP_1) | instskip(NEXT) | instid1(VALU_DEP_1)
	v_dual_add_nc_u32 v1, 16, v9 :: v_dual_bitop2_b32 v6, 8, v9 bitop3:0x54
	v_dual_lshlrev_b32 v7, 2, v9 :: v_dual_sub_nc_u32 v13, v1, v6
	s_delay_alu instid0(VALU_DEP_1)
	v_sub_nc_u32_e32 v3, v8, v13
	v_cmp_lt_i32_e64 s0, v12, v11
	s_or_b32 s0, vcc_lo, s0
	v_cmp_ge_i32_e32 vcc_lo, v8, v13
	v_dual_cndmask_b32 v3, 0, v3 :: v_dual_sub_nc_u32 v14, v6, v9
	s_and_b32 vcc_lo, s1, s0
	s_delay_alu instid0(VALU_DEP_1)
	v_dual_cndmask_b32 v11, v11, v12 :: v_dual_min_i32 v10, v8, v14
	s_mov_b32 s0, exec_lo
	ds_store_b32 v2, v11
	s_wait_dscnt 0x0
	s_barrier_signal -1
	s_barrier_wait -1
	v_cmpx_lt_i32_e64 v3, v10
	s_cbranch_execz .LBB9_16
; %bb.13:
	v_lshlrev_b32_e32 v11, 2, v8
	s_delay_alu instid0(VALU_DEP_1)
	v_lshl_add_u32 v11, v6, 2, v11
.LBB9_14:                               ; =>This Inner Loop Header: Depth=1
	v_sub_nc_u32_e32 v12, v10, v3
	s_delay_alu instid0(VALU_DEP_1) | instskip(NEXT) | instid1(VALU_DEP_1)
	v_lshrrev_b32_e32 v12, 1, v12
	v_add_nc_u32_e32 v12, v12, v3
	s_delay_alu instid0(VALU_DEP_1) | instskip(SKIP_1) | instid1(VALU_DEP_2)
	v_not_b32_e32 v13, v12
	v_lshl_add_u32 v14, v12, 2, v7
	v_lshl_add_u32 v13, v13, 2, v11
	ds_load_b32 v14, v14
	ds_load_b32 v13, v13
	s_wait_dscnt 0x0
	v_cmp_lt_i32_e32 vcc_lo, v13, v14
	v_dual_cndmask_b32 v10, v10, v12 :: v_dual_add_nc_u32 v15, 1, v12
	s_delay_alu instid0(VALU_DEP_1) | instskip(NEXT) | instid1(VALU_DEP_1)
	v_cndmask_b32_e32 v3, v15, v3, vcc_lo
	v_cmp_ge_i32_e32 vcc_lo, v3, v10
	s_or_b32 s2, vcc_lo, s2
	s_delay_alu instid0(SALU_CYCLE_1)
	s_and_not1_b32 exec_lo, exec_lo, s2
	s_cbranch_execnz .LBB9_14
; %bb.15:
	s_or_b32 exec_lo, exec_lo, s2
.LBB9_16:
	s_delay_alu instid0(SALU_CYCLE_1) | instskip(SKIP_3) | instid1(VALU_DEP_2)
	s_or_b32 exec_lo, exec_lo, s0
	v_dual_add_nc_u32 v8, v6, v8 :: v_dual_add_nc_u32 v13, v3, v9
	v_lshl_add_u32 v7, v3, 2, v7
	s_mov_b32 s2, 0
	v_dual_sub_nc_u32 v10, v8, v3 :: v_dual_bitop2_b32 v9, 31, v0 bitop3:0x40
	s_delay_alu instid0(VALU_DEP_3) | instskip(NEXT) | instid1(VALU_DEP_2)
	v_cmp_le_i32_e32 vcc_lo, v6, v13
	v_lshlrev_b32_e32 v8, 2, v10
	ds_load_b32 v11, v7
	ds_load_b32 v12, v8
	v_and_b32_e32 v8, 0x60, v0
	s_wait_dscnt 0x0
	s_barrier_signal -1
	s_barrier_wait -1
	s_delay_alu instid0(VALU_DEP_1) | instskip(SKIP_2) | instid1(VALU_DEP_3)
	v_dual_add_nc_u32 v3, 32, v8 :: v_dual_bitop2_b32 v7, 16, v8 bitop3:0x54
	v_lshlrev_b32_e32 v6, 2, v8
	v_cmp_gt_i32_e64 s1, v1, v10
	v_sub_nc_u32_e32 v14, v7, v8
	s_delay_alu instid0(VALU_DEP_1) | instskip(NEXT) | instid1(VALU_DEP_1)
	v_dual_sub_nc_u32 v13, v3, v7 :: v_dual_min_i32 v10, v9, v14
	v_sub_nc_u32_e32 v1, v9, v13
	v_cmp_lt_i32_e64 s0, v12, v11
	s_or_b32 s0, vcc_lo, s0
	v_cmp_ge_i32_e32 vcc_lo, v9, v13
	v_cndmask_b32_e32 v1, 0, v1, vcc_lo
	s_and_b32 vcc_lo, s1, s0
	s_mov_b32 s0, exec_lo
	v_cndmask_b32_e32 v11, v11, v12, vcc_lo
	ds_store_b32 v2, v11
	s_wait_dscnt 0x0
	s_barrier_signal -1
	s_barrier_wait -1
	v_cmpx_lt_i32_e64 v1, v10
	s_cbranch_execz .LBB9_20
; %bb.17:
	v_lshlrev_b32_e32 v11, 2, v9
	s_delay_alu instid0(VALU_DEP_1)
	v_lshl_add_u32 v11, v7, 2, v11
.LBB9_18:                               ; =>This Inner Loop Header: Depth=1
	v_sub_nc_u32_e32 v12, v10, v1
	s_delay_alu instid0(VALU_DEP_1) | instskip(NEXT) | instid1(VALU_DEP_1)
	v_lshrrev_b32_e32 v12, 1, v12
	v_add_nc_u32_e32 v12, v12, v1
	s_delay_alu instid0(VALU_DEP_1) | instskip(SKIP_1) | instid1(VALU_DEP_2)
	v_not_b32_e32 v13, v12
	v_lshl_add_u32 v14, v12, 2, v6
	v_lshl_add_u32 v13, v13, 2, v11
	ds_load_b32 v14, v14
	ds_load_b32 v13, v13
	s_wait_dscnt 0x0
	v_cmp_lt_i32_e32 vcc_lo, v13, v14
	v_dual_cndmask_b32 v10, v10, v12 :: v_dual_add_nc_u32 v15, 1, v12
	s_delay_alu instid0(VALU_DEP_1) | instskip(NEXT) | instid1(VALU_DEP_1)
	v_cndmask_b32_e32 v1, v15, v1, vcc_lo
	v_cmp_ge_i32_e32 vcc_lo, v1, v10
	s_or_b32 s2, vcc_lo, s2
	s_delay_alu instid0(SALU_CYCLE_1)
	s_and_not1_b32 exec_lo, exec_lo, s2
	s_cbranch_execnz .LBB9_18
; %bb.19:
	s_or_b32 exec_lo, exec_lo, s2
.LBB9_20:
	s_delay_alu instid0(SALU_CYCLE_1) | instskip(SKIP_3) | instid1(VALU_DEP_2)
	s_or_b32 exec_lo, exec_lo, s0
	v_dual_add_nc_u32 v9, v7, v9 :: v_dual_add_nc_u32 v13, v1, v8
	v_lshl_add_u32 v6, v1, 2, v6
	s_mov_b32 s2, 0
	v_dual_sub_nc_u32 v10, v9, v1 :: v_dual_bitop2_b32 v8, 63, v0 bitop3:0x40
	s_delay_alu instid0(VALU_DEP_3) | instskip(NEXT) | instid1(VALU_DEP_2)
	v_cmp_le_i32_e32 vcc_lo, v7, v13
	v_lshlrev_b32_e32 v9, 2, v10
	ds_load_b32 v11, v6
	ds_load_b32 v12, v9
	v_and_b32_e32 v9, 64, v0
	v_cmp_gt_i32_e64 s1, v3, v10
	s_wait_dscnt 0x0
	s_barrier_signal -1
	s_barrier_wait -1
	v_dual_add_nc_u32 v1, 64, v9 :: v_dual_bitop2_b32 v6, 32, v9 bitop3:0x54
	s_delay_alu instid0(VALU_DEP_1) | instskip(NEXT) | instid1(VALU_DEP_1)
	v_dual_lshlrev_b32 v7, 2, v9 :: v_dual_sub_nc_u32 v13, v1, v6
	v_sub_nc_u32_e32 v3, v8, v13
	v_cmp_lt_i32_e64 s0, v12, v11
	s_or_b32 s0, vcc_lo, s0
	v_cmp_ge_i32_e32 vcc_lo, v8, v13
	v_dual_cndmask_b32 v3, 0, v3 :: v_dual_sub_nc_u32 v14, v6, v9
	s_and_b32 vcc_lo, s1, s0
	s_delay_alu instid0(VALU_DEP_1)
	v_dual_cndmask_b32 v11, v11, v12 :: v_dual_min_i32 v10, v8, v14
	s_mov_b32 s0, exec_lo
	ds_store_b32 v2, v11
	s_wait_dscnt 0x0
	s_barrier_signal -1
	s_barrier_wait -1
	v_cmpx_lt_i32_e64 v3, v10
	s_cbranch_execz .LBB9_24
; %bb.21:
	v_lshlrev_b32_e32 v11, 2, v8
	s_delay_alu instid0(VALU_DEP_1)
	v_lshl_add_u32 v11, v6, 2, v11
.LBB9_22:                               ; =>This Inner Loop Header: Depth=1
	v_sub_nc_u32_e32 v12, v10, v3
	s_delay_alu instid0(VALU_DEP_1) | instskip(NEXT) | instid1(VALU_DEP_1)
	v_lshrrev_b32_e32 v12, 1, v12
	v_add_nc_u32_e32 v12, v12, v3
	s_delay_alu instid0(VALU_DEP_1) | instskip(SKIP_1) | instid1(VALU_DEP_2)
	v_not_b32_e32 v13, v12
	v_lshl_add_u32 v14, v12, 2, v7
	v_lshl_add_u32 v13, v13, 2, v11
	ds_load_b32 v14, v14
	ds_load_b32 v13, v13
	s_wait_dscnt 0x0
	v_cmp_lt_i32_e32 vcc_lo, v13, v14
	v_dual_cndmask_b32 v10, v10, v12 :: v_dual_add_nc_u32 v15, 1, v12
	s_delay_alu instid0(VALU_DEP_1) | instskip(NEXT) | instid1(VALU_DEP_1)
	v_cndmask_b32_e32 v3, v15, v3, vcc_lo
	v_cmp_ge_i32_e32 vcc_lo, v3, v10
	s_or_b32 s2, vcc_lo, s2
	s_delay_alu instid0(SALU_CYCLE_1)
	s_and_not1_b32 exec_lo, exec_lo, s2
	s_cbranch_execnz .LBB9_22
; %bb.23:
	s_or_b32 exec_lo, exec_lo, s2
.LBB9_24:
	s_delay_alu instid0(SALU_CYCLE_1) | instskip(SKIP_2) | instid1(VALU_DEP_2)
	s_or_b32 exec_lo, exec_lo, s0
	v_dual_add_nc_u32 v8, v6, v8 :: v_dual_add_nc_u32 v9, v3, v9
	v_lshl_add_u32 v7, v3, 2, v7
	v_sub_nc_u32_e32 v8, v8, v3
	s_delay_alu instid0(VALU_DEP_3) | instskip(SKIP_2) | instid1(VALU_DEP_4)
	v_cmp_le_i32_e32 vcc_lo, v6, v9
	v_min_i32_e32 v6, 64, v0
	v_sub_nc_u32_e64 v3, v0, 64 clamp
	v_lshlrev_b32_e32 v10, 2, v8
	v_cmp_gt_i32_e64 s1, v1, v8
	ds_load_b32 v7, v7
	ds_load_b32 v10, v10
	s_wait_dscnt 0x0
	s_barrier_signal -1
	s_barrier_wait -1
	v_cmp_lt_i32_e64 s0, v10, v7
	s_or_b32 s0, vcc_lo, s0
	s_delay_alu instid0(SALU_CYCLE_1) | instskip(NEXT) | instid1(SALU_CYCLE_1)
	s_and_b32 s0, s1, s0
	v_cndmask_b32_e64 v1, v7, v10, s0
	s_mov_b32 s0, exec_lo
	ds_store_b32 v2, v1
	s_wait_dscnt 0x0
	s_barrier_signal -1
	s_barrier_wait -1
	v_cmpx_lt_i32_e64 v3, v6
	s_cbranch_execz .LBB9_28
; %bb.25:
	v_lshl_add_u32 v1, 64, 2, v2
	s_mov_b32 s1, 0
.LBB9_26:                               ; =>This Inner Loop Header: Depth=1
	v_sub_nc_u32_e32 v2, v6, v3
	s_delay_alu instid0(VALU_DEP_1) | instskip(NEXT) | instid1(VALU_DEP_1)
	v_lshrrev_b32_e32 v2, 1, v2
	v_add_nc_u32_e32 v2, v2, v3
	s_delay_alu instid0(VALU_DEP_1) | instskip(SKIP_1) | instid1(VALU_DEP_2)
	v_not_b32_e32 v7, v2
	v_dual_lshlrev_b32 v8, 2, v2 :: v_dual_add_nc_u32 v9, 1, v2
	v_lshl_add_u32 v7, v7, 2, v1
	ds_load_b32 v8, v8
	ds_load_b32 v7, v7
	s_wait_dscnt 0x0
	v_cmp_lt_i32_e32 vcc_lo, v7, v8
	v_dual_cndmask_b32 v6, v6, v2 :: v_dual_cndmask_b32 v3, v9, v3
	s_delay_alu instid0(VALU_DEP_1) | instskip(SKIP_1) | instid1(SALU_CYCLE_1)
	v_cmp_ge_i32_e32 vcc_lo, v3, v6
	s_or_b32 s1, vcc_lo, s1
	s_and_not1_b32 exec_lo, exec_lo, s1
	s_cbranch_execnz .LBB9_26
; %bb.27:
	s_or_b32 exec_lo, exec_lo, s1
.LBB9_28:
	s_delay_alu instid0(SALU_CYCLE_1) | instskip(SKIP_2) | instid1(VALU_DEP_2)
	s_or_b32 exec_lo, exec_lo, s0
	v_dual_add_nc_u32 v0, 64, v0 :: v_dual_lshlrev_b32 v1, 2, v3
	v_cmp_le_i32_e32 vcc_lo, 64, v3
	v_sub_nc_u32_e32 v0, v0, v3
	s_delay_alu instid0(VALU_DEP_1)
	v_lshlrev_b32_e32 v2, 2, v0
	v_cmp_gt_i32_e64 s1, 0x80, v0
	ds_load_b32 v1, v1
	ds_load_b32 v2, v2
	s_wait_dscnt 0x0
	v_cmp_lt_i32_e64 s0, v2, v1
	s_or_b32 s0, vcc_lo, s0
	s_delay_alu instid0(SALU_CYCLE_1)
	s_and_b32 vcc_lo, s1, s0
	v_cndmask_b32_e32 v0, v1, v2, vcc_lo
	global_store_b32 v[4:5], v0, off
	s_endpgm
	.section	.rodata,"a",@progbits
	.p2align	6, 0x0
	.amdhsa_kernel _Z15sort_key_kernelILj128ELj1EiN10test_utils4lessEEvPT1_T2_
		.amdhsa_group_segment_fixed_size 516
		.amdhsa_private_segment_fixed_size 0
		.amdhsa_kernarg_size 12
		.amdhsa_user_sgpr_count 2
		.amdhsa_user_sgpr_dispatch_ptr 0
		.amdhsa_user_sgpr_queue_ptr 0
		.amdhsa_user_sgpr_kernarg_segment_ptr 1
		.amdhsa_user_sgpr_dispatch_id 0
		.amdhsa_user_sgpr_kernarg_preload_length 0
		.amdhsa_user_sgpr_kernarg_preload_offset 0
		.amdhsa_user_sgpr_private_segment_size 0
		.amdhsa_wavefront_size32 1
		.amdhsa_uses_dynamic_stack 0
		.amdhsa_enable_private_segment 0
		.amdhsa_system_sgpr_workgroup_id_x 1
		.amdhsa_system_sgpr_workgroup_id_y 0
		.amdhsa_system_sgpr_workgroup_id_z 0
		.amdhsa_system_sgpr_workgroup_info 0
		.amdhsa_system_vgpr_workitem_id 0
		.amdhsa_next_free_vgpr 16
		.amdhsa_next_free_sgpr 6
		.amdhsa_named_barrier_count 0
		.amdhsa_reserve_vcc 1
		.amdhsa_float_round_mode_32 0
		.amdhsa_float_round_mode_16_64 0
		.amdhsa_float_denorm_mode_32 3
		.amdhsa_float_denorm_mode_16_64 3
		.amdhsa_fp16_overflow 0
		.amdhsa_memory_ordered 1
		.amdhsa_forward_progress 1
		.amdhsa_inst_pref_size 19
		.amdhsa_round_robin_scheduling 0
		.amdhsa_exception_fp_ieee_invalid_op 0
		.amdhsa_exception_fp_denorm_src 0
		.amdhsa_exception_fp_ieee_div_zero 0
		.amdhsa_exception_fp_ieee_overflow 0
		.amdhsa_exception_fp_ieee_underflow 0
		.amdhsa_exception_fp_ieee_inexact 0
		.amdhsa_exception_int_div_zero 0
	.end_amdhsa_kernel
	.section	.text._Z15sort_key_kernelILj128ELj1EiN10test_utils4lessEEvPT1_T2_,"axG",@progbits,_Z15sort_key_kernelILj128ELj1EiN10test_utils4lessEEvPT1_T2_,comdat
.Lfunc_end9:
	.size	_Z15sort_key_kernelILj128ELj1EiN10test_utils4lessEEvPT1_T2_, .Lfunc_end9-_Z15sort_key_kernelILj128ELj1EiN10test_utils4lessEEvPT1_T2_
                                        ; -- End function
	.set _Z15sort_key_kernelILj128ELj1EiN10test_utils4lessEEvPT1_T2_.num_vgpr, 16
	.set _Z15sort_key_kernelILj128ELj1EiN10test_utils4lessEEvPT1_T2_.num_agpr, 0
	.set _Z15sort_key_kernelILj128ELj1EiN10test_utils4lessEEvPT1_T2_.numbered_sgpr, 6
	.set _Z15sort_key_kernelILj128ELj1EiN10test_utils4lessEEvPT1_T2_.num_named_barrier, 0
	.set _Z15sort_key_kernelILj128ELj1EiN10test_utils4lessEEvPT1_T2_.private_seg_size, 0
	.set _Z15sort_key_kernelILj128ELj1EiN10test_utils4lessEEvPT1_T2_.uses_vcc, 1
	.set _Z15sort_key_kernelILj128ELj1EiN10test_utils4lessEEvPT1_T2_.uses_flat_scratch, 0
	.set _Z15sort_key_kernelILj128ELj1EiN10test_utils4lessEEvPT1_T2_.has_dyn_sized_stack, 0
	.set _Z15sort_key_kernelILj128ELj1EiN10test_utils4lessEEvPT1_T2_.has_recursion, 0
	.set _Z15sort_key_kernelILj128ELj1EiN10test_utils4lessEEvPT1_T2_.has_indirect_call, 0
	.section	.AMDGPU.csdata,"",@progbits
; Kernel info:
; codeLenInByte = 2332
; TotalNumSgprs: 8
; NumVgprs: 16
; ScratchSize: 0
; MemoryBound: 0
; FloatMode: 240
; IeeeMode: 1
; LDSByteSize: 516 bytes/workgroup (compile time only)
; SGPRBlocks: 0
; VGPRBlocks: 0
; NumSGPRsForWavesPerEU: 8
; NumVGPRsForWavesPerEU: 16
; NamedBarCnt: 0
; Occupancy: 16
; WaveLimiterHint : 0
; COMPUTE_PGM_RSRC2:SCRATCH_EN: 0
; COMPUTE_PGM_RSRC2:USER_SGPR: 2
; COMPUTE_PGM_RSRC2:TRAP_HANDLER: 0
; COMPUTE_PGM_RSRC2:TGID_X_EN: 1
; COMPUTE_PGM_RSRC2:TGID_Y_EN: 0
; COMPUTE_PGM_RSRC2:TGID_Z_EN: 0
; COMPUTE_PGM_RSRC2:TIDIG_COMP_CNT: 0
	.section	.text._Z15sort_key_kernelILj64ELj1EjN10test_utils4lessEEvPT1_T2_,"axG",@progbits,_Z15sort_key_kernelILj64ELj1EjN10test_utils4lessEEvPT1_T2_,comdat
	.protected	_Z15sort_key_kernelILj64ELj1EjN10test_utils4lessEEvPT1_T2_ ; -- Begin function _Z15sort_key_kernelILj64ELj1EjN10test_utils4lessEEvPT1_T2_
	.globl	_Z15sort_key_kernelILj64ELj1EjN10test_utils4lessEEvPT1_T2_
	.p2align	8
	.type	_Z15sort_key_kernelILj64ELj1EjN10test_utils4lessEEvPT1_T2_,@function
_Z15sort_key_kernelILj64ELj1EjN10test_utils4lessEEvPT1_T2_: ; @_Z15sort_key_kernelILj64ELj1EjN10test_utils4lessEEvPT1_T2_
; %bb.0:
	s_load_b64 s[0:1], s[0:1], 0x0
	s_bfe_u32 s2, ttmp6, 0x4000c
	s_and_b32 s3, ttmp6, 15
	s_add_co_i32 s2, s2, 1
	s_getreg_b32 s4, hwreg(HW_REG_IB_STS2, 6, 4)
	s_mul_i32 s2, ttmp9, s2
	v_dual_mov_b32 v3, 0 :: v_dual_bitop2_b32 v1, 62, v0 bitop3:0x40
	s_add_co_i32 s3, s3, s2
	s_cmp_eq_u32 s4, 0
	s_delay_alu instid0(VALU_DEP_1)
	v_dual_lshlrev_b32 v2, 2, v0 :: v_dual_lshlrev_b32 v9, 2, v1
	s_cselect_b32 s2, ttmp9, s3
	s_mov_b32 s3, 0
	s_lshl_b32 s2, s2, 6
	v_or_b32_e32 v7, 1, v1
	s_lshl_b64 s[4:5], s[2:3], 2
	v_and_b32_e32 v8, 1, v0
	s_mov_b32 s2, exec_lo
	s_delay_alu instid0(VALU_DEP_2)
	v_sub_nc_u32_e32 v10, v7, v1
	s_wait_kmcnt 0x0
	s_add_nc_u64 s[0:1], s[0:1], s[4:5]
	v_add_nc_u32_e32 v4, -1, v8
	global_load_b32 v5, v0, s[0:1] scale_offset
	v_cmp_lt_i32_e32 vcc_lo, 0, v8
	s_wait_loadcnt 0x0
	s_barrier_signal -1
	s_barrier_wait -1
	v_dual_cndmask_b32 v6, 0, v4, vcc_lo :: v_dual_min_i32 v4, v8, v10
	ds_store_b32 v2, v5
	s_wait_dscnt 0x0
	s_barrier_signal -1
	s_barrier_wait -1
	s_wait_xcnt 0x0
	v_cmpx_lt_i32_e64 v6, v4
	s_cbranch_execz .LBB10_4
; %bb.1:
	v_lshlrev_b32_e32 v5, 2, v8
	s_delay_alu instid0(VALU_DEP_1)
	v_lshl_add_u32 v5, v7, 2, v5
.LBB10_2:                               ; =>This Inner Loop Header: Depth=1
	v_sub_nc_u32_e32 v10, v4, v6
	s_delay_alu instid0(VALU_DEP_1) | instskip(NEXT) | instid1(VALU_DEP_1)
	v_lshrrev_b32_e32 v10, 1, v10
	v_add_nc_u32_e32 v10, v10, v6
	s_delay_alu instid0(VALU_DEP_1) | instskip(SKIP_1) | instid1(VALU_DEP_2)
	v_not_b32_e32 v11, v10
	v_lshl_add_u32 v12, v10, 2, v9
	v_lshl_add_u32 v11, v11, 2, v5
	ds_load_b32 v12, v12
	ds_load_b32 v11, v11
	s_wait_dscnt 0x0
	v_cmp_lt_u32_e32 vcc_lo, v11, v12
	v_dual_cndmask_b32 v4, v4, v10 :: v_dual_add_nc_u32 v13, 1, v10
	s_delay_alu instid0(VALU_DEP_1) | instskip(NEXT) | instid1(VALU_DEP_1)
	v_cndmask_b32_e32 v6, v13, v6, vcc_lo
	v_cmp_ge_i32_e32 vcc_lo, v6, v4
	s_or_b32 s3, vcc_lo, s3
	s_delay_alu instid0(SALU_CYCLE_1)
	s_and_not1_b32 exec_lo, exec_lo, s3
	s_cbranch_execnz .LBB10_2
; %bb.3:
	s_or_b32 exec_lo, exec_lo, s3
.LBB10_4:
	s_delay_alu instid0(SALU_CYCLE_1) | instskip(SKIP_3) | instid1(VALU_DEP_1)
	s_or_b32 exec_lo, exec_lo, s2
	v_add_nc_u64_e32 v[4:5], s[0:1], v[2:3]
	v_add_nc_u32_e32 v3, v7, v8
	s_mov_b32 s2, 0
	v_sub_nc_u32_e32 v10, v3, v6
	v_lshl_add_u32 v3, v6, 2, v9
	s_delay_alu instid0(VALU_DEP_2)
	v_lshlrev_b32_e32 v8, 2, v10
	ds_load_b32 v11, v3
	ds_load_b32 v12, v8
	v_dual_add_nc_u32 v9, v6, v1 :: v_dual_bitop2_b32 v3, 60, v0 bitop3:0x40
	v_cmp_ge_i32_e64 s1, v7, v10
	v_and_b32_e32 v8, 3, v0
	s_wait_dscnt 0x0
	s_delay_alu instid0(VALU_DEP_3)
	v_dual_add_nc_u32 v1, 4, v3 :: v_dual_bitop2_b32 v6, 2, v3 bitop3:0x54
	v_cmp_le_i32_e32 vcc_lo, v7, v9
	v_lshlrev_b32_e32 v9, 2, v3
	s_barrier_signal -1
	s_barrier_wait -1
	v_dual_sub_nc_u32 v13, v1, v6 :: v_dual_sub_nc_u32 v14, v6, v3
	s_delay_alu instid0(VALU_DEP_1)
	v_sub_nc_u32_e32 v7, v8, v13
	v_cmp_lt_u32_e64 s0, v12, v11
	s_or_b32 s0, vcc_lo, s0
	v_cmp_ge_i32_e32 vcc_lo, v8, v13
	v_dual_cndmask_b32 v7, 0, v7 :: v_dual_min_i32 v10, v8, v14
	s_and_b32 vcc_lo, s1, s0
	s_mov_b32 s0, exec_lo
	v_cndmask_b32_e32 v11, v11, v12, vcc_lo
	ds_store_b32 v2, v11
	s_wait_dscnt 0x0
	s_barrier_signal -1
	s_barrier_wait -1
	v_cmpx_lt_i32_e64 v7, v10
	s_cbranch_execz .LBB10_8
; %bb.5:
	v_lshlrev_b32_e32 v11, 2, v8
	s_delay_alu instid0(VALU_DEP_1)
	v_lshl_add_u32 v11, v6, 2, v11
.LBB10_6:                               ; =>This Inner Loop Header: Depth=1
	v_sub_nc_u32_e32 v12, v10, v7
	s_delay_alu instid0(VALU_DEP_1) | instskip(NEXT) | instid1(VALU_DEP_1)
	v_lshrrev_b32_e32 v12, 1, v12
	v_add_nc_u32_e32 v12, v12, v7
	s_delay_alu instid0(VALU_DEP_1) | instskip(SKIP_1) | instid1(VALU_DEP_2)
	v_not_b32_e32 v13, v12
	v_lshl_add_u32 v14, v12, 2, v9
	v_lshl_add_u32 v13, v13, 2, v11
	ds_load_b32 v14, v14
	ds_load_b32 v13, v13
	s_wait_dscnt 0x0
	v_cmp_lt_u32_e32 vcc_lo, v13, v14
	v_dual_cndmask_b32 v10, v10, v12 :: v_dual_add_nc_u32 v15, 1, v12
	s_delay_alu instid0(VALU_DEP_1) | instskip(NEXT) | instid1(VALU_DEP_1)
	v_cndmask_b32_e32 v7, v15, v7, vcc_lo
	v_cmp_ge_i32_e32 vcc_lo, v7, v10
	s_or_b32 s2, vcc_lo, s2
	s_delay_alu instid0(SALU_CYCLE_1)
	s_and_not1_b32 exec_lo, exec_lo, s2
	s_cbranch_execnz .LBB10_6
; %bb.7:
	s_or_b32 exec_lo, exec_lo, s2
.LBB10_8:
	s_delay_alu instid0(SALU_CYCLE_1) | instskip(SKIP_2) | instid1(VALU_DEP_1)
	s_or_b32 exec_lo, exec_lo, s0
	v_add_nc_u32_e32 v8, v6, v8
	s_mov_b32 s2, 0
	v_sub_nc_u32_e32 v10, v8, v7
	v_lshl_add_u32 v8, v7, 2, v9
	s_delay_alu instid0(VALU_DEP_2)
	v_lshlrev_b32_e32 v9, 2, v10
	ds_load_b32 v11, v8
	ds_load_b32 v12, v9
	v_dual_add_nc_u32 v13, v7, v3 :: v_dual_bitop2_b32 v8, 56, v0 bitop3:0x40
	v_cmp_gt_i32_e64 s1, v1, v10
	s_wait_dscnt 0x0
	s_barrier_signal -1
	s_delay_alu instid0(VALU_DEP_2)
	v_dual_add_nc_u32 v3, 8, v8 :: v_dual_bitop2_b32 v7, 4, v8 bitop3:0x54
	v_cmp_le_i32_e32 vcc_lo, v6, v13
	v_lshlrev_b32_e32 v6, 2, v8
	v_and_b32_e32 v9, 7, v0
	s_barrier_wait -1
	v_sub_nc_u32_e32 v13, v3, v7
	v_sub_nc_u32_e32 v14, v7, v8
	s_delay_alu instid0(VALU_DEP_2)
	v_sub_nc_u32_e32 v1, v9, v13
	v_cmp_lt_u32_e64 s0, v12, v11
	s_or_b32 s0, vcc_lo, s0
	v_cmp_ge_i32_e32 vcc_lo, v9, v13
	v_dual_cndmask_b32 v1, 0, v1 :: v_dual_min_i32 v10, v9, v14
	s_and_b32 vcc_lo, s1, s0
	s_mov_b32 s0, exec_lo
	v_cndmask_b32_e32 v11, v11, v12, vcc_lo
	ds_store_b32 v2, v11
	s_wait_dscnt 0x0
	s_barrier_signal -1
	s_barrier_wait -1
	v_cmpx_lt_i32_e64 v1, v10
	s_cbranch_execz .LBB10_12
; %bb.9:
	v_lshlrev_b32_e32 v11, 2, v9
	s_delay_alu instid0(VALU_DEP_1)
	v_lshl_add_u32 v11, v7, 2, v11
.LBB10_10:                              ; =>This Inner Loop Header: Depth=1
	v_sub_nc_u32_e32 v12, v10, v1
	s_delay_alu instid0(VALU_DEP_1) | instskip(NEXT) | instid1(VALU_DEP_1)
	v_lshrrev_b32_e32 v12, 1, v12
	v_add_nc_u32_e32 v12, v12, v1
	s_delay_alu instid0(VALU_DEP_1) | instskip(SKIP_1) | instid1(VALU_DEP_2)
	v_not_b32_e32 v13, v12
	v_lshl_add_u32 v14, v12, 2, v6
	v_lshl_add_u32 v13, v13, 2, v11
	ds_load_b32 v14, v14
	ds_load_b32 v13, v13
	s_wait_dscnt 0x0
	v_cmp_lt_u32_e32 vcc_lo, v13, v14
	v_dual_cndmask_b32 v10, v10, v12 :: v_dual_add_nc_u32 v15, 1, v12
	s_delay_alu instid0(VALU_DEP_1) | instskip(NEXT) | instid1(VALU_DEP_1)
	v_cndmask_b32_e32 v1, v15, v1, vcc_lo
	v_cmp_ge_i32_e32 vcc_lo, v1, v10
	s_or_b32 s2, vcc_lo, s2
	s_delay_alu instid0(SALU_CYCLE_1)
	s_and_not1_b32 exec_lo, exec_lo, s2
	s_cbranch_execnz .LBB10_10
; %bb.11:
	s_or_b32 exec_lo, exec_lo, s2
.LBB10_12:
	s_delay_alu instid0(SALU_CYCLE_1) | instskip(SKIP_3) | instid1(VALU_DEP_2)
	s_or_b32 exec_lo, exec_lo, s0
	v_dual_add_nc_u32 v9, v7, v9 :: v_dual_add_nc_u32 v13, v1, v8
	v_lshl_add_u32 v6, v1, 2, v6
	s_mov_b32 s2, 0
	v_dual_sub_nc_u32 v10, v9, v1 :: v_dual_bitop2_b32 v8, 15, v0 bitop3:0x40
	s_delay_alu instid0(VALU_DEP_3) | instskip(NEXT) | instid1(VALU_DEP_2)
	v_cmp_le_i32_e32 vcc_lo, v7, v13
	v_lshlrev_b32_e32 v9, 2, v10
	ds_load_b32 v11, v6
	ds_load_b32 v12, v9
	v_and_b32_e32 v9, 48, v0
	v_cmp_gt_i32_e64 s1, v3, v10
	s_wait_dscnt 0x0
	s_barrier_signal -1
	s_barrier_wait -1
	v_dual_add_nc_u32 v1, 16, v9 :: v_dual_bitop2_b32 v6, 8, v9 bitop3:0x54
	s_delay_alu instid0(VALU_DEP_1) | instskip(NEXT) | instid1(VALU_DEP_1)
	v_dual_lshlrev_b32 v7, 2, v9 :: v_dual_sub_nc_u32 v13, v1, v6
	v_sub_nc_u32_e32 v3, v8, v13
	v_cmp_lt_u32_e64 s0, v12, v11
	s_or_b32 s0, vcc_lo, s0
	v_cmp_ge_i32_e32 vcc_lo, v8, v13
	v_dual_cndmask_b32 v3, 0, v3 :: v_dual_sub_nc_u32 v14, v6, v9
	s_and_b32 vcc_lo, s1, s0
	s_delay_alu instid0(VALU_DEP_1)
	v_dual_cndmask_b32 v11, v11, v12 :: v_dual_min_i32 v10, v8, v14
	s_mov_b32 s0, exec_lo
	ds_store_b32 v2, v11
	s_wait_dscnt 0x0
	s_barrier_signal -1
	s_barrier_wait -1
	v_cmpx_lt_i32_e64 v3, v10
	s_cbranch_execz .LBB10_16
; %bb.13:
	v_lshlrev_b32_e32 v11, 2, v8
	s_delay_alu instid0(VALU_DEP_1)
	v_lshl_add_u32 v11, v6, 2, v11
.LBB10_14:                              ; =>This Inner Loop Header: Depth=1
	v_sub_nc_u32_e32 v12, v10, v3
	s_delay_alu instid0(VALU_DEP_1) | instskip(NEXT) | instid1(VALU_DEP_1)
	v_lshrrev_b32_e32 v12, 1, v12
	v_add_nc_u32_e32 v12, v12, v3
	s_delay_alu instid0(VALU_DEP_1) | instskip(SKIP_1) | instid1(VALU_DEP_2)
	v_not_b32_e32 v13, v12
	v_lshl_add_u32 v14, v12, 2, v7
	v_lshl_add_u32 v13, v13, 2, v11
	ds_load_b32 v14, v14
	ds_load_b32 v13, v13
	s_wait_dscnt 0x0
	v_cmp_lt_u32_e32 vcc_lo, v13, v14
	v_dual_cndmask_b32 v10, v10, v12 :: v_dual_add_nc_u32 v15, 1, v12
	s_delay_alu instid0(VALU_DEP_1) | instskip(NEXT) | instid1(VALU_DEP_1)
	v_cndmask_b32_e32 v3, v15, v3, vcc_lo
	v_cmp_ge_i32_e32 vcc_lo, v3, v10
	s_or_b32 s2, vcc_lo, s2
	s_delay_alu instid0(SALU_CYCLE_1)
	s_and_not1_b32 exec_lo, exec_lo, s2
	s_cbranch_execnz .LBB10_14
; %bb.15:
	s_or_b32 exec_lo, exec_lo, s2
.LBB10_16:
	s_delay_alu instid0(SALU_CYCLE_1) | instskip(SKIP_3) | instid1(VALU_DEP_2)
	s_or_b32 exec_lo, exec_lo, s0
	v_dual_add_nc_u32 v8, v6, v8 :: v_dual_add_nc_u32 v13, v3, v9
	v_lshl_add_u32 v7, v3, 2, v7
	s_mov_b32 s2, 0
	v_dual_sub_nc_u32 v10, v8, v3 :: v_dual_bitop2_b32 v9, 31, v0 bitop3:0x40
	s_delay_alu instid0(VALU_DEP_3) | instskip(NEXT) | instid1(VALU_DEP_2)
	v_cmp_le_i32_e32 vcc_lo, v6, v13
	v_lshlrev_b32_e32 v8, 2, v10
	ds_load_b32 v11, v7
	ds_load_b32 v12, v8
	v_and_b32_e32 v8, 32, v0
	v_cmp_gt_i32_e64 s1, v1, v10
	s_wait_dscnt 0x0
	s_barrier_signal -1
	s_barrier_wait -1
	v_dual_add_nc_u32 v3, 32, v8 :: v_dual_bitop2_b32 v7, 16, v8 bitop3:0x54
	s_delay_alu instid0(VALU_DEP_1) | instskip(NEXT) | instid1(VALU_DEP_1)
	v_dual_lshlrev_b32 v6, 2, v8 :: v_dual_sub_nc_u32 v13, v3, v7
	v_dual_sub_nc_u32 v14, v7, v8 :: v_dual_sub_nc_u32 v1, v9, v13
	v_cmp_lt_u32_e64 s0, v12, v11
	s_or_b32 s0, vcc_lo, s0
	v_cmp_ge_i32_e32 vcc_lo, v9, v13
	v_dual_cndmask_b32 v1, 0, v1 :: v_dual_min_i32 v10, v9, v14
	s_and_b32 vcc_lo, s1, s0
	s_mov_b32 s0, exec_lo
	v_cndmask_b32_e32 v11, v11, v12, vcc_lo
	ds_store_b32 v2, v11
	s_wait_dscnt 0x0
	s_barrier_signal -1
	s_barrier_wait -1
	v_cmpx_lt_i32_e64 v1, v10
	s_cbranch_execz .LBB10_20
; %bb.17:
	v_lshlrev_b32_e32 v11, 2, v9
	s_delay_alu instid0(VALU_DEP_1)
	v_lshl_add_u32 v11, v7, 2, v11
.LBB10_18:                              ; =>This Inner Loop Header: Depth=1
	v_sub_nc_u32_e32 v12, v10, v1
	s_delay_alu instid0(VALU_DEP_1) | instskip(NEXT) | instid1(VALU_DEP_1)
	v_lshrrev_b32_e32 v12, 1, v12
	v_add_nc_u32_e32 v12, v12, v1
	s_delay_alu instid0(VALU_DEP_1) | instskip(SKIP_1) | instid1(VALU_DEP_2)
	v_not_b32_e32 v13, v12
	v_lshl_add_u32 v14, v12, 2, v6
	v_lshl_add_u32 v13, v13, 2, v11
	ds_load_b32 v14, v14
	ds_load_b32 v13, v13
	s_wait_dscnt 0x0
	v_cmp_lt_u32_e32 vcc_lo, v13, v14
	v_dual_cndmask_b32 v10, v10, v12 :: v_dual_add_nc_u32 v15, 1, v12
	s_delay_alu instid0(VALU_DEP_1) | instskip(NEXT) | instid1(VALU_DEP_1)
	v_cndmask_b32_e32 v1, v15, v1, vcc_lo
	v_cmp_ge_i32_e32 vcc_lo, v1, v10
	s_or_b32 s2, vcc_lo, s2
	s_delay_alu instid0(SALU_CYCLE_1)
	s_and_not1_b32 exec_lo, exec_lo, s2
	s_cbranch_execnz .LBB10_18
; %bb.19:
	s_or_b32 exec_lo, exec_lo, s2
.LBB10_20:
	s_delay_alu instid0(SALU_CYCLE_1) | instskip(SKIP_2) | instid1(VALU_DEP_2)
	s_or_b32 exec_lo, exec_lo, s0
	v_add_nc_u32_e32 v9, v7, v9
	v_lshl_add_u32 v6, v1, 2, v6
	v_sub_nc_u32_e32 v9, v9, v1
	s_delay_alu instid0(VALU_DEP_1)
	v_lshlrev_b32_e32 v10, 2, v9
	ds_load_b32 v11, v6
	ds_load_b32 v10, v10
	v_add_nc_u32_e32 v6, v1, v8
	v_sub_nc_u32_e64 v1, v0, 32 clamp
	s_wait_dscnt 0x0
	s_barrier_signal -1
	s_barrier_wait -1
	v_cmp_le_i32_e32 vcc_lo, v7, v6
	v_min_i32_e32 v6, 32, v0
	v_cmp_gt_i32_e64 s1, v3, v9
	v_cmp_lt_u32_e64 s0, v10, v11
	s_or_b32 s0, vcc_lo, s0
	s_delay_alu instid0(SALU_CYCLE_1) | instskip(NEXT) | instid1(SALU_CYCLE_1)
	s_and_b32 s0, s1, s0
	v_cndmask_b32_e64 v3, v11, v10, s0
	s_mov_b32 s0, exec_lo
	ds_store_b32 v2, v3
	s_wait_dscnt 0x0
	s_barrier_signal -1
	s_barrier_wait -1
	v_cmpx_lt_i32_e64 v1, v6
	s_cbranch_execz .LBB10_24
; %bb.21:
	v_lshl_add_u32 v2, 32, 2, v2
	s_mov_b32 s1, 0
.LBB10_22:                              ; =>This Inner Loop Header: Depth=1
	v_sub_nc_u32_e32 v3, v6, v1
	s_delay_alu instid0(VALU_DEP_1) | instskip(NEXT) | instid1(VALU_DEP_1)
	v_lshrrev_b32_e32 v3, 1, v3
	v_add_nc_u32_e32 v3, v3, v1
	s_delay_alu instid0(VALU_DEP_1) | instskip(SKIP_1) | instid1(VALU_DEP_2)
	v_not_b32_e32 v7, v3
	v_dual_lshlrev_b32 v8, 2, v3 :: v_dual_add_nc_u32 v9, 1, v3
	v_lshl_add_u32 v7, v7, 2, v2
	ds_load_b32 v8, v8
	ds_load_b32 v7, v7
	s_wait_dscnt 0x0
	v_cmp_lt_u32_e32 vcc_lo, v7, v8
	v_dual_cndmask_b32 v6, v6, v3 :: v_dual_cndmask_b32 v1, v9, v1
	s_delay_alu instid0(VALU_DEP_1) | instskip(SKIP_1) | instid1(SALU_CYCLE_1)
	v_cmp_ge_i32_e32 vcc_lo, v1, v6
	s_or_b32 s1, vcc_lo, s1
	s_and_not1_b32 exec_lo, exec_lo, s1
	s_cbranch_execnz .LBB10_22
; %bb.23:
	s_or_b32 exec_lo, exec_lo, s1
.LBB10_24:
	s_delay_alu instid0(SALU_CYCLE_1) | instskip(SKIP_2) | instid1(VALU_DEP_2)
	s_or_b32 exec_lo, exec_lo, s0
	v_dual_add_nc_u32 v0, 32, v0 :: v_dual_lshlrev_b32 v2, 2, v1
	v_cmp_le_i32_e32 vcc_lo, 32, v1
	v_sub_nc_u32_e32 v0, v0, v1
	s_delay_alu instid0(VALU_DEP_1)
	v_lshlrev_b32_e32 v3, 2, v0
	v_cmp_gt_i32_e64 s1, 64, v0
	ds_load_b32 v2, v2
	ds_load_b32 v3, v3
	s_wait_dscnt 0x0
	v_cmp_lt_u32_e64 s0, v3, v2
	s_or_b32 s0, vcc_lo, s0
	s_delay_alu instid0(SALU_CYCLE_1)
	s_and_b32 vcc_lo, s1, s0
	v_cndmask_b32_e32 v0, v2, v3, vcc_lo
	global_store_b32 v[4:5], v0, off
	s_endpgm
	.section	.rodata,"a",@progbits
	.p2align	6, 0x0
	.amdhsa_kernel _Z15sort_key_kernelILj64ELj1EjN10test_utils4lessEEvPT1_T2_
		.amdhsa_group_segment_fixed_size 260
		.amdhsa_private_segment_fixed_size 0
		.amdhsa_kernarg_size 12
		.amdhsa_user_sgpr_count 2
		.amdhsa_user_sgpr_dispatch_ptr 0
		.amdhsa_user_sgpr_queue_ptr 0
		.amdhsa_user_sgpr_kernarg_segment_ptr 1
		.amdhsa_user_sgpr_dispatch_id 0
		.amdhsa_user_sgpr_kernarg_preload_length 0
		.amdhsa_user_sgpr_kernarg_preload_offset 0
		.amdhsa_user_sgpr_private_segment_size 0
		.amdhsa_wavefront_size32 1
		.amdhsa_uses_dynamic_stack 0
		.amdhsa_enable_private_segment 0
		.amdhsa_system_sgpr_workgroup_id_x 1
		.amdhsa_system_sgpr_workgroup_id_y 0
		.amdhsa_system_sgpr_workgroup_id_z 0
		.amdhsa_system_sgpr_workgroup_info 0
		.amdhsa_system_vgpr_workitem_id 0
		.amdhsa_next_free_vgpr 16
		.amdhsa_next_free_sgpr 6
		.amdhsa_named_barrier_count 0
		.amdhsa_reserve_vcc 1
		.amdhsa_float_round_mode_32 0
		.amdhsa_float_round_mode_16_64 0
		.amdhsa_float_denorm_mode_32 3
		.amdhsa_float_denorm_mode_16_64 3
		.amdhsa_fp16_overflow 0
		.amdhsa_memory_ordered 1
		.amdhsa_forward_progress 1
		.amdhsa_inst_pref_size 16
		.amdhsa_round_robin_scheduling 0
		.amdhsa_exception_fp_ieee_invalid_op 0
		.amdhsa_exception_fp_denorm_src 0
		.amdhsa_exception_fp_ieee_div_zero 0
		.amdhsa_exception_fp_ieee_overflow 0
		.amdhsa_exception_fp_ieee_underflow 0
		.amdhsa_exception_fp_ieee_inexact 0
		.amdhsa_exception_int_div_zero 0
	.end_amdhsa_kernel
	.section	.text._Z15sort_key_kernelILj64ELj1EjN10test_utils4lessEEvPT1_T2_,"axG",@progbits,_Z15sort_key_kernelILj64ELj1EjN10test_utils4lessEEvPT1_T2_,comdat
.Lfunc_end10:
	.size	_Z15sort_key_kernelILj64ELj1EjN10test_utils4lessEEvPT1_T2_, .Lfunc_end10-_Z15sort_key_kernelILj64ELj1EjN10test_utils4lessEEvPT1_T2_
                                        ; -- End function
	.set _Z15sort_key_kernelILj64ELj1EjN10test_utils4lessEEvPT1_T2_.num_vgpr, 16
	.set _Z15sort_key_kernelILj64ELj1EjN10test_utils4lessEEvPT1_T2_.num_agpr, 0
	.set _Z15sort_key_kernelILj64ELj1EjN10test_utils4lessEEvPT1_T2_.numbered_sgpr, 6
	.set _Z15sort_key_kernelILj64ELj1EjN10test_utils4lessEEvPT1_T2_.num_named_barrier, 0
	.set _Z15sort_key_kernelILj64ELj1EjN10test_utils4lessEEvPT1_T2_.private_seg_size, 0
	.set _Z15sort_key_kernelILj64ELj1EjN10test_utils4lessEEvPT1_T2_.uses_vcc, 1
	.set _Z15sort_key_kernelILj64ELj1EjN10test_utils4lessEEvPT1_T2_.uses_flat_scratch, 0
	.set _Z15sort_key_kernelILj64ELj1EjN10test_utils4lessEEvPT1_T2_.has_dyn_sized_stack, 0
	.set _Z15sort_key_kernelILj64ELj1EjN10test_utils4lessEEvPT1_T2_.has_recursion, 0
	.set _Z15sort_key_kernelILj64ELj1EjN10test_utils4lessEEvPT1_T2_.has_indirect_call, 0
	.section	.AMDGPU.csdata,"",@progbits
; Kernel info:
; codeLenInByte = 1968
; TotalNumSgprs: 8
; NumVgprs: 16
; ScratchSize: 0
; MemoryBound: 0
; FloatMode: 240
; IeeeMode: 1
; LDSByteSize: 260 bytes/workgroup (compile time only)
; SGPRBlocks: 0
; VGPRBlocks: 0
; NumSGPRsForWavesPerEU: 8
; NumVGPRsForWavesPerEU: 16
; NamedBarCnt: 0
; Occupancy: 16
; WaveLimiterHint : 0
; COMPUTE_PGM_RSRC2:SCRATCH_EN: 0
; COMPUTE_PGM_RSRC2:USER_SGPR: 2
; COMPUTE_PGM_RSRC2:TRAP_HANDLER: 0
; COMPUTE_PGM_RSRC2:TGID_X_EN: 1
; COMPUTE_PGM_RSRC2:TGID_Y_EN: 0
; COMPUTE_PGM_RSRC2:TGID_Z_EN: 0
; COMPUTE_PGM_RSRC2:TIDIG_COMP_CNT: 0
	.section	.text._Z21sort_key_value_kernelILj512ELj2EhiN10test_utils4lessEEvPT1_PT2_T3_,"axG",@progbits,_Z21sort_key_value_kernelILj512ELj2EhiN10test_utils4lessEEvPT1_PT2_T3_,comdat
	.protected	_Z21sort_key_value_kernelILj512ELj2EhiN10test_utils4lessEEvPT1_PT2_T3_ ; -- Begin function _Z21sort_key_value_kernelILj512ELj2EhiN10test_utils4lessEEvPT1_PT2_T3_
	.globl	_Z21sort_key_value_kernelILj512ELj2EhiN10test_utils4lessEEvPT1_PT2_T3_
	.p2align	8
	.type	_Z21sort_key_value_kernelILj512ELj2EhiN10test_utils4lessEEvPT1_PT2_T3_,@function
_Z21sort_key_value_kernelILj512ELj2EhiN10test_utils4lessEEvPT1_PT2_T3_: ; @_Z21sort_key_value_kernelILj512ELj2EhiN10test_utils4lessEEvPT1_PT2_T3_
; %bb.0:
	s_load_b128 s[4:7], s[0:1], 0x0
	s_wait_xcnt 0x0
	s_bfe_u32 s0, ttmp6, 0x4000c
	s_and_b32 s1, ttmp6, 15
	s_add_co_i32 s0, s0, 1
	s_getreg_b32 s2, hwreg(HW_REG_IB_STS2, 6, 4)
	s_mul_i32 s0, ttmp9, s0
	v_lshlrev_b32_e32 v6, 1, v0
	s_add_co_i32 s1, s1, s0
	s_cmp_eq_u32 s2, 0
	v_mov_b32_e32 v7, 0
	s_cselect_b32 s0, ttmp9, s1
	s_mov_b32 s1, 0
	s_lshl_b32 s0, s0, 10
	v_and_b32_e32 v11, 0x3fc, v6
	v_dual_mov_b32 v3, v7 :: v_dual_lshlrev_b32 v2, 3, v0
	s_delay_alu instid0(VALU_DEP_2)
	v_dual_add_nc_u32 v1, 4, v11 :: v_dual_bitop2_b32 v10, 2, v11 bitop3:0x54
	s_wait_kmcnt 0x0
	s_add_nc_u64 s[2:3], s[4:5], s[0:1]
	s_lshl_b64 s[4:5], s[0:1], 2
	global_load_u16 v5, v0, s[2:3] scale_offset
	s_add_nc_u64 s[4:5], s[6:7], s[4:5]
	v_and_b32_e32 v13, 2, v6
	global_load_b64 v[8:9], v0, s[4:5] scale_offset
	v_dual_sub_nc_u32 v14, v1, v10 :: v_dual_sub_nc_u32 v4, v10, v11
	s_mov_b32 s6, exec_lo
	v_add_nc_u32_e32 v12, v10, v13
	s_wait_loadcnt 0x0
	s_delay_alu instid0(VALU_DEP_2)
	v_dual_sub_nc_u32 v15, v13, v14 :: v_dual_min_i32 v4, v13, v4
	v_cmp_ge_i32_e32 vcc_lo, v13, v14
	s_barrier_signal -1
	s_barrier_wait -1
	v_and_b32_e32 v16, 0xff, v5
	v_lshrrev_b16 v17, 8, v5
	v_perm_b32 v18, 0, v5, 0xc0c0001
	v_cndmask_b32_e32 v13, 0, v15, vcc_lo
	s_delay_alu instid0(VALU_DEP_3) | instskip(NEXT) | instid1(VALU_DEP_3)
	v_cmp_lt_u16_e32 vcc_lo, v17, v16
	v_cndmask_b32_e32 v5, v5, v18, vcc_lo
	ds_store_b16 v6, v5
	s_wait_dscnt 0x0
	s_barrier_signal -1
	s_barrier_wait -1
	s_wait_xcnt 0x0
	v_cmpx_lt_i32_e64 v13, v4
	s_cbranch_execz .LBB11_3
.LBB11_1:                               ; =>This Inner Loop Header: Depth=1
	v_sub_nc_u32_e32 v5, v4, v13
	s_delay_alu instid0(VALU_DEP_1) | instskip(NEXT) | instid1(VALU_DEP_1)
	v_lshrrev_b32_e32 v5, 1, v5
	v_add_nc_u32_e32 v5, v5, v13
	s_delay_alu instid0(VALU_DEP_1)
	v_dual_add_nc_u32 v14, v11, v5 :: v_dual_add_nc_u32 v16, 1, v5
	v_xad_u32 v15, v5, -1, v12
	ds_load_u8 v14, v14
	ds_load_u8 v15, v15
	s_wait_dscnt 0x0
	v_cmp_lt_u16_e64 s0, v15, v14
	s_delay_alu instid0(VALU_DEP_1) | instskip(SKIP_1) | instid1(VALU_DEP_1)
	v_cndmask_b32_e64 v13, v16, v13, s0
	v_cndmask_b32_e64 v4, v4, v5, s0
	v_cmp_ge_i32_e64 s0, v13, v4
	s_or_b32 s1, s0, s1
	s_delay_alu instid0(SALU_CYCLE_1)
	s_and_not1_b32 exec_lo, exec_lo, s1
	s_cbranch_execnz .LBB11_1
; %bb.2:
	s_or_b32 exec_lo, exec_lo, s1
.LBB11_3:
	s_delay_alu instid0(SALU_CYCLE_1)
	s_or_b32 exec_lo, exec_lo, s6
	v_add_nc_u64_e32 v[4:5], s[2:3], v[6:7]
	v_dual_add_nc_u32 v7, v13, v11 :: v_dual_sub_nc_u32 v11, v12, v13
	v_add_nc_u64_e32 v[2:3], s[4:5], v[2:3]
	ds_load_u8 v13, v7
	ds_load_u8 v15, v11
	v_cmp_le_i32_e64 s0, v10, v7
	v_cmp_gt_i32_e64 s2, v1, v11
	s_wait_dscnt 0x1
	v_and_b32_e32 v12, 0xff, v13
	s_wait_dscnt 0x0
	v_and_b32_e32 v14, 0xff, v15
	s_delay_alu instid0(VALU_DEP_1) | instskip(SKIP_1) | instid1(SALU_CYCLE_1)
	v_cmp_lt_u16_e64 s1, v14, v12
                                        ; implicit-def: $vgpr12
	s_or_b32 s0, s0, s1
	s_and_b32 s0, s2, s0
	s_delay_alu instid0(SALU_CYCLE_1) | instskip(NEXT) | instid1(SALU_CYCLE_1)
	s_xor_b32 s1, s0, -1
	s_and_saveexec_b32 s2, s1
	s_delay_alu instid0(SALU_CYCLE_1)
	s_xor_b32 s1, exec_lo, s2
; %bb.4:
	ds_load_u8 v12, v7 offset:1
; %bb.5:
	s_or_saveexec_b32 s1, s1
	v_mov_b32_e32 v14, v15
	s_xor_b32 exec_lo, exec_lo, s1
	s_cbranch_execz .LBB11_7
; %bb.6:
	ds_load_u8 v14, v11 offset:1
	s_wait_dscnt 0x1
	v_mov_b32_e32 v12, v13
.LBB11_7:
	s_or_b32 exec_lo, exec_lo, s1
	v_add_nc_u32_e32 v16, 1, v7
	v_cndmask_b32_e64 v13, v13, v15, s0
	v_add_nc_u32_e32 v15, 1, v11
	s_wait_dscnt 0x0
	v_and_b32_e32 v17, 0xff, v12
	v_and_b32_e32 v18, 0xff, v14
	v_cndmask_b32_e64 v16, v16, v7, s0
	v_cndmask_b32_e64 v7, v7, v11, s0
	v_dual_cndmask_b32 v11, v11, v15, s0 :: v_dual_cndmask_b32 v15, v9, v8, vcc_lo
	s_delay_alu instid0(VALU_DEP_4) | instskip(NEXT) | instid1(VALU_DEP_4)
	v_cmp_lt_u16_e64 s0, v18, v17
	v_cmp_ge_i32_e64 s1, v16, v10
	v_cndmask_b32_e32 v8, v8, v9, vcc_lo
	s_delay_alu instid0(VALU_DEP_4) | instskip(SKIP_3) | instid1(SALU_CYCLE_1)
	v_cmp_lt_i32_e32 vcc_lo, v11, v1
	v_and_b32_e32 v10, 0x3f8, v6
	v_mad_u32_u24 v1, v0, 6, v6
	s_or_b32 s0, s1, s0
	s_and_b32 vcc_lo, vcc_lo, s0
	s_delay_alu instid0(VALU_DEP_2) | instid1(SALU_CYCLE_1)
	v_dual_cndmask_b32 v11, v16, v11, vcc_lo :: v_dual_bitop2_b32 v9, 4, v10 bitop3:0x54
	s_barrier_signal -1
	s_barrier_wait -1
	ds_store_2addr_b32 v1, v8, v15 offset1:1
	v_dual_lshlrev_b32 v1, 2, v7 :: v_dual_add_nc_u32 v8, 8, v10
	v_dual_cndmask_b32 v12, v12, v14 :: v_dual_lshlrev_b32 v7, 2, v11
	s_wait_dscnt 0x0
	s_barrier_signal -1
	s_barrier_wait -1
	ds_load_b32 v1, v1
	ds_load_b32 v7, v7
	v_dual_sub_nc_u32 v11, v8, v9 :: v_dual_bitop2_b32 v14, 6, v6 bitop3:0x40
	v_lshlrev_b16 v12, 8, v12
	v_sub_nc_u32_e32 v16, v9, v10
	s_wait_dscnt 0x0
	s_barrier_signal -1
	v_sub_nc_u32_e32 v15, v14, v11
	v_bitop3_b16 v12, v13, v12, 0xff bitop3:0xec
	v_cmp_ge_i32_e32 vcc_lo, v14, v11
	v_min_i32_e32 v13, v14, v16
	s_barrier_wait -1
	ds_store_b16 v6, v12
	v_dual_cndmask_b32 v11, 0, v15 :: v_dual_add_nc_u32 v12, v9, v14
	s_mov_b32 s1, 0
	s_mov_b32 s0, exec_lo
	s_wait_dscnt 0x0
	s_barrier_signal -1
	s_barrier_wait -1
	v_cmpx_lt_i32_e64 v11, v13
	s_cbranch_execz .LBB11_10
.LBB11_8:                               ; =>This Inner Loop Header: Depth=1
	v_sub_nc_u32_e32 v14, v13, v11
	s_delay_alu instid0(VALU_DEP_1) | instskip(NEXT) | instid1(VALU_DEP_1)
	v_lshrrev_b32_e32 v14, 1, v14
	v_add_nc_u32_e32 v14, v14, v11
	s_delay_alu instid0(VALU_DEP_1)
	v_dual_add_nc_u32 v15, v10, v14 :: v_dual_add_nc_u32 v17, 1, v14
	v_xad_u32 v16, v14, -1, v12
	ds_load_u8 v15, v15
	ds_load_u8 v16, v16
	s_wait_dscnt 0x0
	v_cmp_lt_u16_e32 vcc_lo, v16, v15
	v_cndmask_b32_e32 v13, v13, v14, vcc_lo
	v_cndmask_b32_e32 v11, v17, v11, vcc_lo
	s_delay_alu instid0(VALU_DEP_1) | instskip(SKIP_1) | instid1(SALU_CYCLE_1)
	v_cmp_ge_i32_e32 vcc_lo, v11, v13
	s_or_b32 s1, vcc_lo, s1
	s_and_not1_b32 exec_lo, exec_lo, s1
	s_cbranch_execnz .LBB11_8
; %bb.9:
	s_or_b32 exec_lo, exec_lo, s1
.LBB11_10:
	s_delay_alu instid0(SALU_CYCLE_1)
	s_or_b32 exec_lo, exec_lo, s0
	v_dual_add_nc_u32 v10, v11, v10 :: v_dual_sub_nc_u32 v11, v12, v11
	v_mul_u32_u24_e32 v0, 6, v0
	ds_load_u8 v13, v10
	ds_load_u8 v14, v11
	v_cmp_le_i32_e32 vcc_lo, v9, v10
	v_cmp_gt_i32_e64 s1, v8, v11
	s_wait_dscnt 0x1
	v_and_b32_e32 v12, 0xff, v13
	s_wait_dscnt 0x0
	v_and_b32_e32 v15, 0xff, v14
	s_delay_alu instid0(VALU_DEP_1) | instskip(SKIP_1) | instid1(SALU_CYCLE_1)
	v_cmp_lt_u16_e64 s0, v15, v12
                                        ; implicit-def: $vgpr12
	s_or_b32 s0, vcc_lo, s0
	s_and_b32 vcc_lo, s1, s0
	s_delay_alu instid0(SALU_CYCLE_1) | instskip(NEXT) | instid1(SALU_CYCLE_1)
	s_xor_b32 s0, vcc_lo, -1
	s_and_saveexec_b32 s1, s0
	s_delay_alu instid0(SALU_CYCLE_1)
	s_xor_b32 s0, exec_lo, s1
; %bb.11:
	ds_load_u8 v12, v10 offset:1
; %bb.12:
	s_or_saveexec_b32 s0, s0
	v_mov_b32_e32 v15, v14
	s_xor_b32 exec_lo, exec_lo, s0
	s_cbranch_execz .LBB11_14
; %bb.13:
	ds_load_u8 v15, v11 offset:1
	s_wait_dscnt 0x1
	v_mov_b32_e32 v12, v13
.LBB11_14:
	s_or_b32 exec_lo, exec_lo, s0
	v_add_nc_u32_e32 v16, 1, v10
	v_dual_cndmask_b32 v13, v13, v14, vcc_lo :: v_dual_cndmask_b32 v19, v10, v11, vcc_lo
	v_add_nc_u32_e32 v14, 1, v11
	s_wait_dscnt 0x0
	v_and_b32_e32 v17, 0xff, v12
	v_and_b32_e32 v18, 0xff, v15
	v_dual_cndmask_b32 v16, v16, v10, vcc_lo :: v_dual_add_nc_u32 v0, v6, v0
	v_cndmask_b32_e32 v10, v11, v14, vcc_lo
	s_delay_alu instid0(VALU_DEP_3) | instskip(NEXT) | instid1(VALU_DEP_3)
	v_cmp_lt_u16_e32 vcc_lo, v18, v17
	v_cmp_ge_i32_e64 s0, v16, v9
	s_barrier_signal -1
	s_delay_alu instid0(VALU_DEP_3)
	v_cmp_lt_i32_e64 s1, v10, v8
	s_barrier_wait -1
	s_or_b32 s0, s0, vcc_lo
	ds_store_2addr_b32 v0, v1, v7 offset1:1
	s_and_b32 vcc_lo, s1, s0
	s_wait_dscnt 0x0
	v_cndmask_b32_e32 v11, v12, v15, vcc_lo
	v_cndmask_b32_e32 v12, v16, v10, vcc_lo
	v_and_b32_e32 v10, 0x3f0, v6
	s_barrier_signal -1
	v_lshlrev_b32_e32 v1, 2, v19
	s_barrier_wait -1
	s_delay_alu instid0(VALU_DEP_2)
	v_dual_add_nc_u32 v8, 16, v10 :: v_dual_bitop2_b32 v9, 8, v10 bitop3:0x54
	v_dual_lshlrev_b32 v7, 2, v12 :: v_dual_bitop2_b32 v12, 14, v6 bitop3:0x40
	ds_load_b32 v1, v1
	ds_load_b32 v7, v7
	v_dual_sub_nc_u32 v14, v8, v9 :: v_dual_sub_nc_u32 v16, v9, v10
	v_lshlrev_b16 v11, 8, v11
	s_mov_b32 s1, 0
	s_mov_b32 s0, exec_lo
	s_delay_alu instid0(VALU_DEP_2)
	v_sub_nc_u32_e32 v15, v12, v14
	v_cmp_ge_i32_e32 vcc_lo, v12, v14
	v_bitop3_b16 v17, v13, v11, 0xff bitop3:0xec
	v_min_i32_e32 v13, v12, v16
	v_add_nc_u32_e32 v12, v9, v12
	s_wait_dscnt 0x0
	v_cndmask_b32_e32 v11, 0, v15, vcc_lo
	s_barrier_signal -1
	s_barrier_wait -1
	ds_store_b16 v6, v17
	s_wait_dscnt 0x0
	s_barrier_signal -1
	s_barrier_wait -1
	v_cmpx_lt_i32_e64 v11, v13
	s_cbranch_execz .LBB11_17
.LBB11_15:                              ; =>This Inner Loop Header: Depth=1
	v_sub_nc_u32_e32 v14, v13, v11
	s_delay_alu instid0(VALU_DEP_1) | instskip(NEXT) | instid1(VALU_DEP_1)
	v_lshrrev_b32_e32 v14, 1, v14
	v_add_nc_u32_e32 v14, v14, v11
	s_delay_alu instid0(VALU_DEP_1)
	v_dual_add_nc_u32 v15, v10, v14 :: v_dual_add_nc_u32 v17, 1, v14
	v_xad_u32 v16, v14, -1, v12
	ds_load_u8 v15, v15
	ds_load_u8 v16, v16
	s_wait_dscnt 0x0
	v_cmp_lt_u16_e32 vcc_lo, v16, v15
	v_cndmask_b32_e32 v13, v13, v14, vcc_lo
	v_cndmask_b32_e32 v11, v17, v11, vcc_lo
	s_delay_alu instid0(VALU_DEP_1) | instskip(SKIP_1) | instid1(SALU_CYCLE_1)
	v_cmp_ge_i32_e32 vcc_lo, v11, v13
	s_or_b32 s1, vcc_lo, s1
	s_and_not1_b32 exec_lo, exec_lo, s1
	s_cbranch_execnz .LBB11_15
; %bb.16:
	s_or_b32 exec_lo, exec_lo, s1
.LBB11_17:
	s_delay_alu instid0(SALU_CYCLE_1)
	s_or_b32 exec_lo, exec_lo, s0
	v_dual_add_nc_u32 v10, v11, v10 :: v_dual_sub_nc_u32 v13, v12, v11
	ds_load_u8 v14, v10
	ds_load_u8 v15, v13
	v_cmp_le_i32_e32 vcc_lo, v9, v10
	v_cmp_gt_i32_e64 s1, v8, v13
	s_wait_dscnt 0x1
	v_and_b32_e32 v11, 0xff, v14
	s_wait_dscnt 0x0
	v_and_b32_e32 v12, 0xff, v15
	s_delay_alu instid0(VALU_DEP_1) | instskip(SKIP_1) | instid1(SALU_CYCLE_1)
	v_cmp_lt_u16_e64 s0, v12, v11
                                        ; implicit-def: $vgpr11
	s_or_b32 s0, vcc_lo, s0
	s_and_b32 vcc_lo, s1, s0
	s_delay_alu instid0(SALU_CYCLE_1) | instskip(NEXT) | instid1(SALU_CYCLE_1)
	s_xor_b32 s0, vcc_lo, -1
	s_and_saveexec_b32 s1, s0
	s_delay_alu instid0(SALU_CYCLE_1)
	s_xor_b32 s0, exec_lo, s1
; %bb.18:
	ds_load_u8 v11, v10 offset:1
; %bb.19:
	s_or_saveexec_b32 s0, s0
	v_mov_b32_e32 v12, v15
	s_xor_b32 exec_lo, exec_lo, s0
	s_cbranch_execz .LBB11_21
; %bb.20:
	ds_load_u8 v12, v13 offset:1
	s_wait_dscnt 0x1
	v_mov_b32_e32 v11, v14
.LBB11_21:
	s_or_b32 exec_lo, exec_lo, s0
	v_dual_add_nc_u32 v16, 1, v10 :: v_dual_cndmask_b32 v14, v14, v15, vcc_lo
	v_add_nc_u32_e32 v15, 1, v13
	s_wait_dscnt 0x0
	v_and_b32_e32 v17, 0xff, v11
	v_and_b32_e32 v18, 0xff, v12
	v_dual_cndmask_b32 v16, v16, v10 :: v_dual_cndmask_b32 v19, v10, v13
	v_cndmask_b32_e32 v13, v13, v15, vcc_lo
	s_delay_alu instid0(VALU_DEP_3) | instskip(NEXT) | instid1(VALU_DEP_3)
	v_cmp_lt_u16_e32 vcc_lo, v18, v17
	v_cmp_ge_i32_e64 s0, v16, v9
	s_barrier_signal -1
	s_delay_alu instid0(VALU_DEP_3)
	v_cmp_lt_i32_e64 s1, v13, v8
	s_barrier_wait -1
	s_or_b32 s0, s0, vcc_lo
	v_and_b32_e32 v10, 0x3e0, v6
	s_and_b32 vcc_lo, s1, s0
	ds_store_2addr_b32 v0, v1, v7 offset1:1
	v_dual_cndmask_b32 v11, v11, v12 :: v_dual_cndmask_b32 v12, v16, v13
	v_lshlrev_b32_e32 v1, 2, v19
	s_wait_dscnt 0x0
	s_barrier_signal -1
	s_barrier_wait -1
	v_dual_lshlrev_b32 v7, 2, v12 :: v_dual_bitop2_b32 v9, 16, v10 bitop3:0x54
	v_add_nc_u32_e32 v8, 32, v10
	ds_load_b32 v1, v1
	ds_load_b32 v7, v7
	v_and_b32_e32 v12, 30, v6
	v_lshlrev_b16 v11, 8, v11
	v_dual_sub_nc_u32 v13, v8, v9 :: v_dual_sub_nc_u32 v16, v9, v10
	s_mov_b32 s1, 0
	s_mov_b32 s0, exec_lo
	s_delay_alu instid0(VALU_DEP_2) | instskip(NEXT) | instid1(VALU_DEP_2)
	v_bitop3_b16 v14, v14, v11, 0xff bitop3:0xec
	v_sub_nc_u32_e32 v15, v12, v13
	v_cmp_ge_i32_e32 vcc_lo, v12, v13
	v_min_i32_e32 v13, v12, v16
	v_add_nc_u32_e32 v12, v9, v12
	s_wait_dscnt 0x0
	s_barrier_signal -1
	v_cndmask_b32_e32 v11, 0, v15, vcc_lo
	s_barrier_wait -1
	ds_store_b16 v6, v14
	s_wait_dscnt 0x0
	s_barrier_signal -1
	s_barrier_wait -1
	v_cmpx_lt_i32_e64 v11, v13
	s_cbranch_execz .LBB11_24
.LBB11_22:                              ; =>This Inner Loop Header: Depth=1
	v_sub_nc_u32_e32 v14, v13, v11
	s_delay_alu instid0(VALU_DEP_1) | instskip(NEXT) | instid1(VALU_DEP_1)
	v_lshrrev_b32_e32 v14, 1, v14
	v_add_nc_u32_e32 v14, v14, v11
	s_delay_alu instid0(VALU_DEP_1)
	v_dual_add_nc_u32 v15, v10, v14 :: v_dual_add_nc_u32 v17, 1, v14
	v_xad_u32 v16, v14, -1, v12
	ds_load_u8 v15, v15
	ds_load_u8 v16, v16
	s_wait_dscnt 0x0
	v_cmp_lt_u16_e32 vcc_lo, v16, v15
	v_cndmask_b32_e32 v13, v13, v14, vcc_lo
	v_cndmask_b32_e32 v11, v17, v11, vcc_lo
	s_delay_alu instid0(VALU_DEP_1) | instskip(SKIP_1) | instid1(SALU_CYCLE_1)
	v_cmp_ge_i32_e32 vcc_lo, v11, v13
	s_or_b32 s1, vcc_lo, s1
	s_and_not1_b32 exec_lo, exec_lo, s1
	s_cbranch_execnz .LBB11_22
; %bb.23:
	s_or_b32 exec_lo, exec_lo, s1
.LBB11_24:
	s_delay_alu instid0(SALU_CYCLE_1)
	s_or_b32 exec_lo, exec_lo, s0
	v_dual_add_nc_u32 v10, v11, v10 :: v_dual_sub_nc_u32 v13, v12, v11
	ds_load_u8 v14, v10
	ds_load_u8 v15, v13
	v_cmp_le_i32_e32 vcc_lo, v9, v10
	v_cmp_gt_i32_e64 s1, v8, v13
	s_wait_dscnt 0x1
	v_and_b32_e32 v11, 0xff, v14
	s_wait_dscnt 0x0
	v_and_b32_e32 v12, 0xff, v15
	s_delay_alu instid0(VALU_DEP_1) | instskip(SKIP_1) | instid1(SALU_CYCLE_1)
	v_cmp_lt_u16_e64 s0, v12, v11
                                        ; implicit-def: $vgpr11
	s_or_b32 s0, vcc_lo, s0
	s_and_b32 vcc_lo, s1, s0
	s_delay_alu instid0(SALU_CYCLE_1) | instskip(NEXT) | instid1(SALU_CYCLE_1)
	s_xor_b32 s0, vcc_lo, -1
	s_and_saveexec_b32 s1, s0
	s_delay_alu instid0(SALU_CYCLE_1)
	s_xor_b32 s0, exec_lo, s1
; %bb.25:
	ds_load_u8 v11, v10 offset:1
; %bb.26:
	s_or_saveexec_b32 s0, s0
	v_mov_b32_e32 v12, v15
	s_xor_b32 exec_lo, exec_lo, s0
	s_cbranch_execz .LBB11_28
; %bb.27:
	ds_load_u8 v12, v13 offset:1
	s_wait_dscnt 0x1
	v_mov_b32_e32 v11, v14
.LBB11_28:
	s_or_b32 exec_lo, exec_lo, s0
	v_dual_add_nc_u32 v16, 1, v10 :: v_dual_cndmask_b32 v14, v14, v15, vcc_lo
	v_add_nc_u32_e32 v15, 1, v13
	s_wait_dscnt 0x0
	v_and_b32_e32 v17, 0xff, v11
	v_and_b32_e32 v18, 0xff, v12
	v_dual_cndmask_b32 v16, v16, v10 :: v_dual_cndmask_b32 v19, v10, v13
	v_cndmask_b32_e32 v13, v13, v15, vcc_lo
	s_delay_alu instid0(VALU_DEP_3) | instskip(NEXT) | instid1(VALU_DEP_3)
	v_cmp_lt_u16_e32 vcc_lo, v18, v17
	v_cmp_ge_i32_e64 s0, v16, v9
	s_barrier_signal -1
	s_delay_alu instid0(VALU_DEP_3)
	v_cmp_lt_i32_e64 s1, v13, v8
	s_barrier_wait -1
	s_or_b32 s0, s0, vcc_lo
	v_and_b32_e32 v10, 0x3c0, v6
	s_and_b32 vcc_lo, s1, s0
	ds_store_2addr_b32 v0, v1, v7 offset1:1
	v_dual_cndmask_b32 v11, v11, v12 :: v_dual_cndmask_b32 v12, v16, v13
	v_lshlrev_b32_e32 v1, 2, v19
	s_wait_dscnt 0x0
	s_barrier_signal -1
	s_barrier_wait -1
	v_dual_lshlrev_b32 v7, 2, v12 :: v_dual_bitop2_b32 v9, 32, v10 bitop3:0x54
	v_add_nc_u32_e32 v8, 64, v10
	ds_load_b32 v1, v1
	ds_load_b32 v7, v7
	v_and_b32_e32 v12, 62, v6
	v_lshlrev_b16 v11, 8, v11
	v_dual_sub_nc_u32 v13, v8, v9 :: v_dual_sub_nc_u32 v16, v9, v10
	s_mov_b32 s1, 0
	s_mov_b32 s0, exec_lo
	s_delay_alu instid0(VALU_DEP_2) | instskip(NEXT) | instid1(VALU_DEP_2)
	v_bitop3_b16 v14, v14, v11, 0xff bitop3:0xec
	v_sub_nc_u32_e32 v15, v12, v13
	v_cmp_ge_i32_e32 vcc_lo, v12, v13
	v_min_i32_e32 v13, v12, v16
	v_add_nc_u32_e32 v12, v9, v12
	s_wait_dscnt 0x0
	s_barrier_signal -1
	v_cndmask_b32_e32 v11, 0, v15, vcc_lo
	s_barrier_wait -1
	ds_store_b16 v6, v14
	s_wait_dscnt 0x0
	s_barrier_signal -1
	s_barrier_wait -1
	v_cmpx_lt_i32_e64 v11, v13
	s_cbranch_execz .LBB11_31
.LBB11_29:                              ; =>This Inner Loop Header: Depth=1
	v_sub_nc_u32_e32 v14, v13, v11
	s_delay_alu instid0(VALU_DEP_1) | instskip(NEXT) | instid1(VALU_DEP_1)
	v_lshrrev_b32_e32 v14, 1, v14
	v_add_nc_u32_e32 v14, v14, v11
	s_delay_alu instid0(VALU_DEP_1)
	v_dual_add_nc_u32 v15, v10, v14 :: v_dual_add_nc_u32 v17, 1, v14
	v_xad_u32 v16, v14, -1, v12
	ds_load_u8 v15, v15
	ds_load_u8 v16, v16
	s_wait_dscnt 0x0
	v_cmp_lt_u16_e32 vcc_lo, v16, v15
	v_cndmask_b32_e32 v13, v13, v14, vcc_lo
	v_cndmask_b32_e32 v11, v17, v11, vcc_lo
	s_delay_alu instid0(VALU_DEP_1) | instskip(SKIP_1) | instid1(SALU_CYCLE_1)
	v_cmp_ge_i32_e32 vcc_lo, v11, v13
	s_or_b32 s1, vcc_lo, s1
	s_and_not1_b32 exec_lo, exec_lo, s1
	s_cbranch_execnz .LBB11_29
; %bb.30:
	s_or_b32 exec_lo, exec_lo, s1
.LBB11_31:
	s_delay_alu instid0(SALU_CYCLE_1)
	s_or_b32 exec_lo, exec_lo, s0
	v_dual_add_nc_u32 v10, v11, v10 :: v_dual_sub_nc_u32 v13, v12, v11
	ds_load_u8 v14, v10
	ds_load_u8 v15, v13
	v_cmp_le_i32_e32 vcc_lo, v9, v10
	v_cmp_gt_i32_e64 s1, v8, v13
	s_wait_dscnt 0x1
	v_and_b32_e32 v11, 0xff, v14
	s_wait_dscnt 0x0
	v_and_b32_e32 v12, 0xff, v15
	s_delay_alu instid0(VALU_DEP_1) | instskip(SKIP_1) | instid1(SALU_CYCLE_1)
	v_cmp_lt_u16_e64 s0, v12, v11
                                        ; implicit-def: $vgpr11
	s_or_b32 s0, vcc_lo, s0
	s_and_b32 vcc_lo, s1, s0
	s_delay_alu instid0(SALU_CYCLE_1) | instskip(NEXT) | instid1(SALU_CYCLE_1)
	s_xor_b32 s0, vcc_lo, -1
	s_and_saveexec_b32 s1, s0
	s_delay_alu instid0(SALU_CYCLE_1)
	s_xor_b32 s0, exec_lo, s1
; %bb.32:
	ds_load_u8 v11, v10 offset:1
; %bb.33:
	s_or_saveexec_b32 s0, s0
	v_mov_b32_e32 v12, v15
	s_xor_b32 exec_lo, exec_lo, s0
	s_cbranch_execz .LBB11_35
; %bb.34:
	ds_load_u8 v12, v13 offset:1
	s_wait_dscnt 0x1
	v_mov_b32_e32 v11, v14
.LBB11_35:
	s_or_b32 exec_lo, exec_lo, s0
	v_dual_add_nc_u32 v16, 1, v10 :: v_dual_cndmask_b32 v14, v14, v15, vcc_lo
	v_add_nc_u32_e32 v15, 1, v13
	s_wait_dscnt 0x0
	v_and_b32_e32 v17, 0xff, v11
	v_and_b32_e32 v18, 0xff, v12
	v_dual_cndmask_b32 v16, v16, v10 :: v_dual_cndmask_b32 v19, v10, v13
	v_cndmask_b32_e32 v13, v13, v15, vcc_lo
	v_and_b32_e32 v10, 0x380, v6
	s_delay_alu instid0(VALU_DEP_4) | instskip(NEXT) | instid1(VALU_DEP_4)
	v_cmp_lt_u16_e32 vcc_lo, v18, v17
	v_cmp_ge_i32_e64 s0, v16, v9
	s_delay_alu instid0(VALU_DEP_4) | instskip(SKIP_3) | instid1(SALU_CYCLE_1)
	v_cmp_lt_i32_e64 s1, v13, v8
	s_barrier_signal -1
	s_barrier_wait -1
	s_or_b32 s0, s0, vcc_lo
	s_and_b32 vcc_lo, s1, s0
	ds_store_2addr_b32 v0, v1, v7 offset1:1
	v_dual_cndmask_b32 v11, v11, v12 :: v_dual_cndmask_b32 v12, v16, v13
	v_dual_lshlrev_b32 v1, 2, v19 :: v_dual_bitop2_b32 v9, 64, v10 bitop3:0x54
	v_add_nc_u32_e32 v8, 0x80, v10
	s_wait_dscnt 0x0
	s_delay_alu instid0(VALU_DEP_3)
	v_lshlrev_b32_e32 v7, 2, v12
	s_barrier_signal -1
	s_barrier_wait -1
	v_sub_nc_u32_e32 v13, v8, v9
	ds_load_b32 v1, v1
	ds_load_b32 v7, v7
	v_and_b32_e32 v12, 0x7e, v6
	v_lshlrev_b16 v11, 8, v11
	v_sub_nc_u32_e32 v16, v9, v10
	s_mov_b32 s1, 0
	s_mov_b32 s0, exec_lo
	v_sub_nc_u32_e32 v15, v12, v13
	v_cmp_ge_i32_e32 vcc_lo, v12, v13
	v_bitop3_b16 v14, v14, v11, 0xff bitop3:0xec
	v_min_i32_e32 v13, v12, v16
	v_add_nc_u32_e32 v12, v9, v12
	s_wait_dscnt 0x0
	v_cndmask_b32_e32 v11, 0, v15, vcc_lo
	s_barrier_signal -1
	s_barrier_wait -1
	ds_store_b16 v6, v14
	s_wait_dscnt 0x0
	s_barrier_signal -1
	s_barrier_wait -1
	v_cmpx_lt_i32_e64 v11, v13
	s_cbranch_execz .LBB11_38
.LBB11_36:                              ; =>This Inner Loop Header: Depth=1
	v_sub_nc_u32_e32 v14, v13, v11
	s_delay_alu instid0(VALU_DEP_1) | instskip(NEXT) | instid1(VALU_DEP_1)
	v_lshrrev_b32_e32 v14, 1, v14
	v_add_nc_u32_e32 v14, v14, v11
	s_delay_alu instid0(VALU_DEP_1)
	v_dual_add_nc_u32 v15, v10, v14 :: v_dual_add_nc_u32 v17, 1, v14
	v_xad_u32 v16, v14, -1, v12
	ds_load_u8 v15, v15
	ds_load_u8 v16, v16
	s_wait_dscnt 0x0
	v_cmp_lt_u16_e32 vcc_lo, v16, v15
	v_cndmask_b32_e32 v13, v13, v14, vcc_lo
	v_cndmask_b32_e32 v11, v17, v11, vcc_lo
	s_delay_alu instid0(VALU_DEP_1) | instskip(SKIP_1) | instid1(SALU_CYCLE_1)
	v_cmp_ge_i32_e32 vcc_lo, v11, v13
	s_or_b32 s1, vcc_lo, s1
	s_and_not1_b32 exec_lo, exec_lo, s1
	s_cbranch_execnz .LBB11_36
; %bb.37:
	s_or_b32 exec_lo, exec_lo, s1
.LBB11_38:
	s_delay_alu instid0(SALU_CYCLE_1)
	s_or_b32 exec_lo, exec_lo, s0
	v_dual_add_nc_u32 v10, v11, v10 :: v_dual_sub_nc_u32 v13, v12, v11
	ds_load_u8 v14, v10
	ds_load_u8 v15, v13
	v_cmp_le_i32_e32 vcc_lo, v9, v10
	v_cmp_gt_i32_e64 s1, v8, v13
	s_wait_dscnt 0x1
	v_and_b32_e32 v11, 0xff, v14
	s_wait_dscnt 0x0
	v_and_b32_e32 v12, 0xff, v15
	s_delay_alu instid0(VALU_DEP_1) | instskip(SKIP_1) | instid1(SALU_CYCLE_1)
	v_cmp_lt_u16_e64 s0, v12, v11
                                        ; implicit-def: $vgpr11
	s_or_b32 s0, vcc_lo, s0
	s_and_b32 vcc_lo, s1, s0
	s_delay_alu instid0(SALU_CYCLE_1) | instskip(NEXT) | instid1(SALU_CYCLE_1)
	s_xor_b32 s0, vcc_lo, -1
	s_and_saveexec_b32 s1, s0
	s_delay_alu instid0(SALU_CYCLE_1)
	s_xor_b32 s0, exec_lo, s1
; %bb.39:
	ds_load_u8 v11, v10 offset:1
; %bb.40:
	s_or_saveexec_b32 s0, s0
	v_mov_b32_e32 v12, v15
	s_xor_b32 exec_lo, exec_lo, s0
	s_cbranch_execz .LBB11_42
; %bb.41:
	ds_load_u8 v12, v13 offset:1
	s_wait_dscnt 0x1
	v_mov_b32_e32 v11, v14
.LBB11_42:
	s_or_b32 exec_lo, exec_lo, s0
	v_dual_add_nc_u32 v16, 1, v10 :: v_dual_cndmask_b32 v14, v14, v15, vcc_lo
	v_add_nc_u32_e32 v15, 1, v13
	s_wait_dscnt 0x0
	v_and_b32_e32 v17, 0xff, v11
	v_and_b32_e32 v18, 0xff, v12
	v_dual_cndmask_b32 v16, v16, v10 :: v_dual_cndmask_b32 v19, v10, v13
	v_cndmask_b32_e32 v13, v13, v15, vcc_lo
	s_delay_alu instid0(VALU_DEP_3) | instskip(NEXT) | instid1(VALU_DEP_3)
	v_cmp_lt_u16_e32 vcc_lo, v18, v17
	v_cmp_ge_i32_e64 s0, v16, v9
	s_barrier_signal -1
	s_delay_alu instid0(VALU_DEP_3)
	v_cmp_lt_i32_e64 s1, v13, v8
	s_barrier_wait -1
	s_or_b32 s0, s0, vcc_lo
	v_and_b32_e32 v10, 0x300, v6
	s_and_b32 vcc_lo, s1, s0
	ds_store_2addr_b32 v0, v1, v7 offset1:1
	v_dual_cndmask_b32 v11, v11, v12 :: v_dual_cndmask_b32 v12, v16, v13
	v_lshlrev_b32_e32 v1, 2, v19
	s_wait_dscnt 0x0
	s_barrier_signal -1
	s_barrier_wait -1
	v_lshlrev_b32_e32 v7, 2, v12
	v_or_b32_e32 v9, 0x80, v10
	v_add_nc_u32_e32 v8, 0x100, v10
	ds_load_b32 v1, v1
	ds_load_b32 v7, v7
	v_and_b32_e32 v12, 0xfe, v6
	v_lshlrev_b16 v11, 8, v11
	v_dual_sub_nc_u32 v13, v8, v9 :: v_dual_sub_nc_u32 v16, v9, v10
	s_mov_b32 s1, 0
	s_mov_b32 s0, exec_lo
	s_delay_alu instid0(VALU_DEP_2) | instskip(NEXT) | instid1(VALU_DEP_2)
	v_bitop3_b16 v14, v14, v11, 0xff bitop3:0xec
	v_sub_nc_u32_e32 v15, v12, v13
	v_cmp_ge_i32_e32 vcc_lo, v12, v13
	v_min_i32_e32 v13, v12, v16
	v_add_nc_u32_e32 v12, v9, v12
	s_wait_dscnt 0x0
	s_barrier_signal -1
	v_cndmask_b32_e32 v11, 0, v15, vcc_lo
	s_barrier_wait -1
	ds_store_b16 v6, v14
	s_wait_dscnt 0x0
	s_barrier_signal -1
	s_barrier_wait -1
	v_cmpx_lt_i32_e64 v11, v13
	s_cbranch_execz .LBB11_45
.LBB11_43:                              ; =>This Inner Loop Header: Depth=1
	v_sub_nc_u32_e32 v14, v13, v11
	s_delay_alu instid0(VALU_DEP_1) | instskip(NEXT) | instid1(VALU_DEP_1)
	v_lshrrev_b32_e32 v14, 1, v14
	v_add_nc_u32_e32 v14, v14, v11
	s_delay_alu instid0(VALU_DEP_1)
	v_dual_add_nc_u32 v15, v10, v14 :: v_dual_add_nc_u32 v17, 1, v14
	v_xad_u32 v16, v14, -1, v12
	ds_load_u8 v15, v15
	ds_load_u8 v16, v16
	s_wait_dscnt 0x0
	v_cmp_lt_u16_e32 vcc_lo, v16, v15
	v_cndmask_b32_e32 v13, v13, v14, vcc_lo
	v_cndmask_b32_e32 v11, v17, v11, vcc_lo
	s_delay_alu instid0(VALU_DEP_1) | instskip(SKIP_1) | instid1(SALU_CYCLE_1)
	v_cmp_ge_i32_e32 vcc_lo, v11, v13
	s_or_b32 s1, vcc_lo, s1
	s_and_not1_b32 exec_lo, exec_lo, s1
	s_cbranch_execnz .LBB11_43
; %bb.44:
	s_or_b32 exec_lo, exec_lo, s1
.LBB11_45:
	s_delay_alu instid0(SALU_CYCLE_1)
	s_or_b32 exec_lo, exec_lo, s0
	v_dual_add_nc_u32 v10, v11, v10 :: v_dual_sub_nc_u32 v13, v12, v11
	ds_load_u8 v14, v10
	ds_load_u8 v15, v13
	v_cmp_le_i32_e32 vcc_lo, v9, v10
	v_cmp_gt_i32_e64 s1, v8, v13
	s_wait_dscnt 0x1
	v_and_b32_e32 v11, 0xff, v14
	s_wait_dscnt 0x0
	v_and_b32_e32 v12, 0xff, v15
	s_delay_alu instid0(VALU_DEP_1) | instskip(SKIP_1) | instid1(SALU_CYCLE_1)
	v_cmp_lt_u16_e64 s0, v12, v11
                                        ; implicit-def: $vgpr11
	s_or_b32 s0, vcc_lo, s0
	s_and_b32 vcc_lo, s1, s0
	s_delay_alu instid0(SALU_CYCLE_1) | instskip(NEXT) | instid1(SALU_CYCLE_1)
	s_xor_b32 s0, vcc_lo, -1
	s_and_saveexec_b32 s1, s0
	s_delay_alu instid0(SALU_CYCLE_1)
	s_xor_b32 s0, exec_lo, s1
; %bb.46:
	ds_load_u8 v11, v10 offset:1
; %bb.47:
	s_or_saveexec_b32 s0, s0
	v_mov_b32_e32 v12, v15
	s_xor_b32 exec_lo, exec_lo, s0
	s_cbranch_execz .LBB11_49
; %bb.48:
	ds_load_u8 v12, v13 offset:1
	s_wait_dscnt 0x1
	v_mov_b32_e32 v11, v14
.LBB11_49:
	s_or_b32 exec_lo, exec_lo, s0
	v_dual_add_nc_u32 v16, 1, v10 :: v_dual_cndmask_b32 v14, v14, v15, vcc_lo
	v_add_nc_u32_e32 v15, 1, v13
	s_wait_dscnt 0x0
	v_and_b32_e32 v17, 0xff, v11
	v_and_b32_e32 v18, 0xff, v12
	v_dual_cndmask_b32 v16, v16, v10 :: v_dual_cndmask_b32 v19, v10, v13
	v_cndmask_b32_e32 v13, v13, v15, vcc_lo
	s_delay_alu instid0(VALU_DEP_3) | instskip(NEXT) | instid1(VALU_DEP_3)
	v_cmp_lt_u16_e32 vcc_lo, v18, v17
	v_cmp_ge_i32_e64 s0, v16, v9
	s_barrier_signal -1
	s_delay_alu instid0(VALU_DEP_3)
	v_cmp_lt_i32_e64 s1, v13, v8
	s_barrier_wait -1
	s_or_b32 s0, s0, vcc_lo
	v_and_b32_e32 v10, 0x200, v6
	s_and_b32 vcc_lo, s1, s0
	ds_store_2addr_b32 v0, v1, v7 offset1:1
	v_dual_cndmask_b32 v11, v11, v12 :: v_dual_cndmask_b32 v12, v16, v13
	v_lshlrev_b32_e32 v1, 2, v19
	s_wait_dscnt 0x0
	s_barrier_signal -1
	s_barrier_wait -1
	v_lshlrev_b32_e32 v7, 2, v12
	v_or_b32_e32 v8, 0x100, v10
	v_add_nc_u32_e32 v9, 0x200, v10
	ds_load_b32 v1, v1
	ds_load_b32 v7, v7
	v_and_b32_e32 v13, 0x1fe, v6
	v_lshlrev_b16 v11, 8, v11
	v_dual_sub_nc_u32 v12, v9, v8 :: v_dual_sub_nc_u32 v16, v8, v10
	s_mov_b32 s1, 0
	s_mov_b32 s0, exec_lo
	s_delay_alu instid0(VALU_DEP_2) | instskip(NEXT) | instid1(VALU_DEP_2)
	v_bitop3_b16 v14, v14, v11, 0xff bitop3:0xec
	v_sub_nc_u32_e32 v15, v13, v12
	v_cmp_ge_i32_e32 vcc_lo, v13, v12
	v_dual_add_nc_u32 v13, v8, v13 :: v_dual_min_i32 v12, v13, v16
	s_wait_dscnt 0x0
	s_barrier_signal -1
	v_cndmask_b32_e32 v11, 0, v15, vcc_lo
	s_barrier_wait -1
	ds_store_b16 v6, v14
	s_wait_dscnt 0x0
	s_barrier_signal -1
	s_barrier_wait -1
	v_cmpx_lt_i32_e64 v11, v12
	s_cbranch_execz .LBB11_52
.LBB11_50:                              ; =>This Inner Loop Header: Depth=1
	v_sub_nc_u32_e32 v14, v12, v11
	s_delay_alu instid0(VALU_DEP_1) | instskip(NEXT) | instid1(VALU_DEP_1)
	v_lshrrev_b32_e32 v14, 1, v14
	v_add_nc_u32_e32 v14, v14, v11
	s_delay_alu instid0(VALU_DEP_1)
	v_dual_add_nc_u32 v15, v10, v14 :: v_dual_add_nc_u32 v17, 1, v14
	v_xad_u32 v16, v14, -1, v13
	ds_load_u8 v15, v15
	ds_load_u8 v16, v16
	s_wait_dscnt 0x0
	v_cmp_lt_u16_e32 vcc_lo, v16, v15
	v_dual_cndmask_b32 v12, v12, v14 :: v_dual_cndmask_b32 v11, v17, v11
	s_delay_alu instid0(VALU_DEP_1) | instskip(SKIP_1) | instid1(SALU_CYCLE_1)
	v_cmp_ge_i32_e32 vcc_lo, v11, v12
	s_or_b32 s1, vcc_lo, s1
	s_and_not1_b32 exec_lo, exec_lo, s1
	s_cbranch_execnz .LBB11_50
; %bb.51:
	s_or_b32 exec_lo, exec_lo, s1
.LBB11_52:
	s_delay_alu instid0(SALU_CYCLE_1)
	s_or_b32 exec_lo, exec_lo, s0
	v_dual_add_nc_u32 v12, v11, v10 :: v_dual_sub_nc_u32 v13, v13, v11
	ds_load_u8 v10, v12
	ds_load_u8 v11, v13
	v_cmp_le_i32_e32 vcc_lo, v8, v12
	v_cmp_gt_i32_e64 s1, v9, v13
	s_wait_dscnt 0x1
	v_and_b32_e32 v14, 0xff, v10
	s_wait_dscnt 0x0
	v_and_b32_e32 v15, 0xff, v11
	s_delay_alu instid0(VALU_DEP_1) | instskip(SKIP_1) | instid1(SALU_CYCLE_1)
	v_cmp_lt_u16_e64 s0, v15, v14
                                        ; implicit-def: $vgpr14
	s_or_b32 s0, vcc_lo, s0
	s_and_b32 vcc_lo, s1, s0
	s_delay_alu instid0(SALU_CYCLE_1) | instskip(NEXT) | instid1(SALU_CYCLE_1)
	s_xor_b32 s0, vcc_lo, -1
	s_and_saveexec_b32 s1, s0
	s_delay_alu instid0(SALU_CYCLE_1)
	s_xor_b32 s0, exec_lo, s1
; %bb.53:
	ds_load_u8 v14, v12 offset:1
; %bb.54:
	s_or_saveexec_b32 s0, s0
	v_mov_b32_e32 v15, v11
	s_xor_b32 exec_lo, exec_lo, s0
	s_cbranch_execz .LBB11_56
; %bb.55:
	ds_load_u8 v15, v13 offset:1
	s_wait_dscnt 0x1
	v_mov_b32_e32 v14, v10
.LBB11_56:
	s_or_b32 exec_lo, exec_lo, s0
	v_dual_add_nc_u32 v16, 1, v12 :: v_dual_add_nc_u32 v17, 1, v13
	s_wait_dscnt 0x0
	s_delay_alu instid0(VALU_DEP_2) | instskip(SKIP_1) | instid1(VALU_DEP_3)
	v_and_b32_e32 v18, 0xff, v14
	v_and_b32_e32 v19, 0xff, v15
	v_dual_cndmask_b32 v16, v16, v12 :: v_dual_cndmask_b32 v17, v13, v17
	s_barrier_signal -1
	s_delay_alu instid0(VALU_DEP_2) | instskip(SKIP_1) | instid1(VALU_DEP_2)
	v_cmp_lt_u16_e64 s0, v19, v18
	s_barrier_wait -1
	v_cmp_ge_i32_e64 s1, v16, v8
	v_cmp_lt_i32_e64 s2, v17, v9
	ds_store_2addr_b32 v0, v1, v7 offset1:1
	s_wait_dscnt 0x0
	s_or_b32 s0, s1, s0
	s_barrier_signal -1
	s_and_b32 s0, s2, s0
	s_delay_alu instid0(SALU_CYCLE_1) | instskip(SKIP_2) | instid1(VALU_DEP_2)
	v_dual_cndmask_b32 v8, v12, v13, vcc_lo :: v_dual_cndmask_b32 v9, v14, v15, s0
	v_cndmask_b32_e64 v12, v16, v17, s0
	s_barrier_wait -1
	v_dual_cndmask_b32 v8, v10, v11 :: v_dual_lshlrev_b32 v1, 2, v8
	s_delay_alu instid0(VALU_DEP_2)
	v_lshlrev_b32_e32 v7, 2, v12
	v_lshlrev_b16 v9, 8, v9
	v_and_b32_e32 v10, 0x3fe, v6
	ds_load_b32 v1, v1
	ds_load_b32 v7, v7
	s_wait_dscnt 0x0
	v_bitop3_b16 v11, v8, v9, 0xff bitop3:0xec
	v_subrev_nc_u32_e64 v8, 0x200, v10 clamp
	v_min_i32_e32 v9, 0x200, v10
	s_barrier_signal -1
	s_barrier_wait -1
	ds_store_b16 v6, v11
	v_add_nc_u32_e32 v6, 0x200, v10
	s_mov_b32 s0, exec_lo
	s_wait_dscnt 0x0
	s_barrier_signal -1
	s_barrier_wait -1
	v_cmpx_lt_i32_e64 v8, v9
	s_cbranch_execz .LBB11_60
; %bb.57:
	s_mov_b32 s1, 0
.LBB11_58:                              ; =>This Inner Loop Header: Depth=1
	v_sub_nc_u32_e32 v10, v9, v8
	s_delay_alu instid0(VALU_DEP_1) | instskip(NEXT) | instid1(VALU_DEP_1)
	v_lshrrev_b32_e32 v10, 1, v10
	v_add_nc_u32_e32 v10, v10, v8
	s_delay_alu instid0(VALU_DEP_1)
	v_xad_u32 v11, v10, -1, v6
	ds_load_u8 v12, v10
	ds_load_u8 v11, v11
	s_wait_dscnt 0x0
	v_cmp_lt_u16_e32 vcc_lo, v11, v12
	v_dual_add_nc_u32 v13, 1, v10 :: v_dual_cndmask_b32 v9, v9, v10, vcc_lo
	s_delay_alu instid0(VALU_DEP_1) | instskip(NEXT) | instid1(VALU_DEP_1)
	v_cndmask_b32_e32 v8, v13, v8, vcc_lo
	v_cmp_ge_i32_e32 vcc_lo, v8, v9
	s_or_b32 s1, vcc_lo, s1
	s_delay_alu instid0(SALU_CYCLE_1)
	s_and_not1_b32 exec_lo, exec_lo, s1
	s_cbranch_execnz .LBB11_58
; %bb.59:
	s_or_b32 exec_lo, exec_lo, s1
.LBB11_60:
	s_delay_alu instid0(SALU_CYCLE_1)
	s_or_b32 exec_lo, exec_lo, s0
	v_sub_nc_u32_e32 v6, v6, v8
	v_cmp_gt_i32_e32 vcc_lo, 0x200, v8
                                        ; implicit-def: $vgpr12
	ds_load_u8 v13, v8
	ds_load_u8 v9, v6
	v_cmp_lt_i32_e64 s1, 0x3ff, v6
	s_wait_dscnt 0x1
	v_and_b32_e32 v10, 0xff, v13
	s_wait_dscnt 0x0
	v_and_b32_e32 v11, 0xff, v9
	s_delay_alu instid0(VALU_DEP_1) | instskip(SKIP_1) | instid1(SALU_CYCLE_1)
	v_cmp_ge_u16_e64 s0, v11, v10
                                        ; implicit-def: $vgpr11
	s_and_b32 s0, vcc_lo, s0
	s_or_b32 s0, s1, s0
	s_delay_alu instid0(SALU_CYCLE_1) | instskip(NEXT) | instid1(SALU_CYCLE_1)
	s_and_saveexec_b32 s1, s0
	s_xor_b32 s0, exec_lo, s1
; %bb.61:
	ds_load_u8 v12, v8 offset:1
	v_add_nc_u32_e32 v11, 1, v8
; %bb.62:
	s_or_saveexec_b32 s0, s0
	v_dual_mov_b32 v10, v13 :: v_dual_mov_b32 v14, v8
	s_xor_b32 exec_lo, exec_lo, s0
	s_cbranch_execz .LBB11_64
; %bb.63:
	ds_load_u8 v15, v6 offset:1
	s_wait_dscnt 0x1
	v_dual_add_nc_u32 v12, 1, v6 :: v_dual_mov_b32 v10, v9
	v_dual_mov_b32 v14, v6 :: v_dual_mov_b32 v11, v8
	s_delay_alu instid0(VALU_DEP_2)
	v_dual_mov_b32 v6, v12 :: v_dual_mov_b32 v12, v13
	s_wait_dscnt 0x0
	v_mov_b32_e32 v9, v15
.LBB11_64:
	s_or_b32 exec_lo, exec_lo, s0
	s_wait_dscnt 0x0
	v_and_b32_e32 v8, 0xff, v12
	s_delay_alu instid0(VALU_DEP_2) | instskip(SKIP_3) | instid1(VALU_DEP_3)
	v_and_b32_e32 v13, 0xff, v9
	v_cmp_le_i32_e32 vcc_lo, 0x200, v11
	v_cmp_gt_i32_e64 s1, 0x400, v6
	s_barrier_signal -1
	v_cmp_lt_u16_e64 s0, v13, v8
	s_barrier_wait -1
	ds_store_2addr_b32 v0, v1, v7 offset1:1
	v_lshlrev_b32_e32 v0, 2, v14
	s_or_b32 s0, vcc_lo, s0
	s_wait_dscnt 0x0
	s_and_b32 vcc_lo, s1, s0
	s_barrier_signal -1
	v_dual_cndmask_b32 v8, v12, v9, vcc_lo :: v_dual_cndmask_b32 v6, v11, v6, vcc_lo
	s_barrier_wait -1
	s_delay_alu instid0(VALU_DEP_1) | instskip(NEXT) | instid1(VALU_DEP_2)
	v_lshlrev_b32_e32 v1, 2, v6
	v_lshlrev_b16 v6, 8, v8
	ds_load_b32 v0, v0
	ds_load_b32 v1, v1
	v_bitop3_b16 v6, v10, v6, 0xff bitop3:0xec
	global_store_b16 v[4:5], v6, off
	s_wait_dscnt 0x0
	global_store_b64 v[2:3], v[0:1], off
	s_endpgm
	.section	.rodata,"a",@progbits
	.p2align	6, 0x0
	.amdhsa_kernel _Z21sort_key_value_kernelILj512ELj2EhiN10test_utils4lessEEvPT1_PT2_T3_
		.amdhsa_group_segment_fixed_size 4100
		.amdhsa_private_segment_fixed_size 0
		.amdhsa_kernarg_size 20
		.amdhsa_user_sgpr_count 2
		.amdhsa_user_sgpr_dispatch_ptr 0
		.amdhsa_user_sgpr_queue_ptr 0
		.amdhsa_user_sgpr_kernarg_segment_ptr 1
		.amdhsa_user_sgpr_dispatch_id 0
		.amdhsa_user_sgpr_kernarg_preload_length 0
		.amdhsa_user_sgpr_kernarg_preload_offset 0
		.amdhsa_user_sgpr_private_segment_size 0
		.amdhsa_wavefront_size32 1
		.amdhsa_uses_dynamic_stack 0
		.amdhsa_enable_private_segment 0
		.amdhsa_system_sgpr_workgroup_id_x 1
		.amdhsa_system_sgpr_workgroup_id_y 0
		.amdhsa_system_sgpr_workgroup_id_z 0
		.amdhsa_system_sgpr_workgroup_info 0
		.amdhsa_system_vgpr_workitem_id 0
		.amdhsa_next_free_vgpr 20
		.amdhsa_next_free_sgpr 8
		.amdhsa_named_barrier_count 0
		.amdhsa_reserve_vcc 1
		.amdhsa_float_round_mode_32 0
		.amdhsa_float_round_mode_16_64 0
		.amdhsa_float_denorm_mode_32 3
		.amdhsa_float_denorm_mode_16_64 3
		.amdhsa_fp16_overflow 0
		.amdhsa_memory_ordered 1
		.amdhsa_forward_progress 1
		.amdhsa_inst_pref_size 40
		.amdhsa_round_robin_scheduling 0
		.amdhsa_exception_fp_ieee_invalid_op 0
		.amdhsa_exception_fp_denorm_src 0
		.amdhsa_exception_fp_ieee_div_zero 0
		.amdhsa_exception_fp_ieee_overflow 0
		.amdhsa_exception_fp_ieee_underflow 0
		.amdhsa_exception_fp_ieee_inexact 0
		.amdhsa_exception_int_div_zero 0
	.end_amdhsa_kernel
	.section	.text._Z21sort_key_value_kernelILj512ELj2EhiN10test_utils4lessEEvPT1_PT2_T3_,"axG",@progbits,_Z21sort_key_value_kernelILj512ELj2EhiN10test_utils4lessEEvPT1_PT2_T3_,comdat
.Lfunc_end11:
	.size	_Z21sort_key_value_kernelILj512ELj2EhiN10test_utils4lessEEvPT1_PT2_T3_, .Lfunc_end11-_Z21sort_key_value_kernelILj512ELj2EhiN10test_utils4lessEEvPT1_PT2_T3_
                                        ; -- End function
	.set _Z21sort_key_value_kernelILj512ELj2EhiN10test_utils4lessEEvPT1_PT2_T3_.num_vgpr, 20
	.set _Z21sort_key_value_kernelILj512ELj2EhiN10test_utils4lessEEvPT1_PT2_T3_.num_agpr, 0
	.set _Z21sort_key_value_kernelILj512ELj2EhiN10test_utils4lessEEvPT1_PT2_T3_.numbered_sgpr, 8
	.set _Z21sort_key_value_kernelILj512ELj2EhiN10test_utils4lessEEvPT1_PT2_T3_.num_named_barrier, 0
	.set _Z21sort_key_value_kernelILj512ELj2EhiN10test_utils4lessEEvPT1_PT2_T3_.private_seg_size, 0
	.set _Z21sort_key_value_kernelILj512ELj2EhiN10test_utils4lessEEvPT1_PT2_T3_.uses_vcc, 1
	.set _Z21sort_key_value_kernelILj512ELj2EhiN10test_utils4lessEEvPT1_PT2_T3_.uses_flat_scratch, 0
	.set _Z21sort_key_value_kernelILj512ELj2EhiN10test_utils4lessEEvPT1_PT2_T3_.has_dyn_sized_stack, 0
	.set _Z21sort_key_value_kernelILj512ELj2EhiN10test_utils4lessEEvPT1_PT2_T3_.has_recursion, 0
	.set _Z21sort_key_value_kernelILj512ELj2EhiN10test_utils4lessEEvPT1_PT2_T3_.has_indirect_call, 0
	.section	.AMDGPU.csdata,"",@progbits
; Kernel info:
; codeLenInByte = 5076
; TotalNumSgprs: 10
; NumVgprs: 20
; ScratchSize: 0
; MemoryBound: 0
; FloatMode: 240
; IeeeMode: 1
; LDSByteSize: 4100 bytes/workgroup (compile time only)
; SGPRBlocks: 0
; VGPRBlocks: 1
; NumSGPRsForWavesPerEU: 10
; NumVGPRsForWavesPerEU: 20
; NamedBarCnt: 0
; Occupancy: 16
; WaveLimiterHint : 0
; COMPUTE_PGM_RSRC2:SCRATCH_EN: 0
; COMPUTE_PGM_RSRC2:USER_SGPR: 2
; COMPUTE_PGM_RSRC2:TRAP_HANDLER: 0
; COMPUTE_PGM_RSRC2:TGID_X_EN: 1
; COMPUTE_PGM_RSRC2:TGID_Y_EN: 0
; COMPUTE_PGM_RSRC2:TGID_Z_EN: 0
; COMPUTE_PGM_RSRC2:TIDIG_COMP_CNT: 0
	.section	.text._Z21sort_key_value_kernelILj64ELj1EycN10test_utils4lessEEvPT1_PT2_T3_,"axG",@progbits,_Z21sort_key_value_kernelILj64ELj1EycN10test_utils4lessEEvPT1_PT2_T3_,comdat
	.protected	_Z21sort_key_value_kernelILj64ELj1EycN10test_utils4lessEEvPT1_PT2_T3_ ; -- Begin function _Z21sort_key_value_kernelILj64ELj1EycN10test_utils4lessEEvPT1_PT2_T3_
	.globl	_Z21sort_key_value_kernelILj64ELj1EycN10test_utils4lessEEvPT1_PT2_T3_
	.p2align	8
	.type	_Z21sort_key_value_kernelILj64ELj1EycN10test_utils4lessEEvPT1_PT2_T3_,@function
_Z21sort_key_value_kernelILj64ELj1EycN10test_utils4lessEEvPT1_PT2_T3_: ; @_Z21sort_key_value_kernelILj64ELj1EycN10test_utils4lessEEvPT1_PT2_T3_
; %bb.0:
	s_load_b128 s[4:7], s[0:1], 0x0
	s_wait_xcnt 0x0
	s_bfe_u32 s0, ttmp6, 0x4000c
	s_and_b32 s1, ttmp6, 15
	s_add_co_i32 s0, s0, 1
	s_getreg_b32 s2, hwreg(HW_REG_IB_STS2, 6, 4)
	s_mul_i32 s0, ttmp9, s0
	s_mov_b32 s3, 0
	s_add_co_i32 s1, s1, s0
	s_cmp_eq_u32 s2, 0
	v_dual_mov_b32 v1, 0 :: v_dual_bitop2_b32 v10, 62, v0 bitop3:0x40
	s_cselect_b32 s0, ttmp9, s1
	v_dual_lshlrev_b32 v6, 3, v0 :: v_dual_bitop2_b32 v11, 1, v0 bitop3:0x40
	s_lshl_b32 s2, s0, 6
	s_delay_alu instid0(VALU_DEP_2) | instskip(SKIP_1) | instid1(VALU_DEP_2)
	v_or_b32_e32 v9, 1, v10
	s_lshl_b64 s[0:1], s[2:3], 3
	v_add_nc_u32_e32 v2, -1, v11
	v_cmp_lt_i32_e32 vcc_lo, 0, v11
	v_mov_b32_e32 v7, v1
	s_wait_kmcnt 0x0
	s_add_nc_u64 s[0:1], s[4:5], s[0:1]
	s_add_nc_u64 s[4:5], s[6:7], s[2:3]
	s_clause 0x1
	global_load_b64 v[4:5], v0, s[0:1] scale_offset
	global_load_u8 v8, v0, s[4:5]
	v_dual_sub_nc_u32 v3, v9, v10 :: v_dual_lshlrev_b32 v13, 3, v10
	v_cndmask_b32_e32 v12, 0, v2, vcc_lo
	s_mov_b32 s2, exec_lo
	s_wait_loadcnt 0x0
	s_delay_alu instid0(VALU_DEP_2)
	v_min_i32_e32 v2, v11, v3
	s_barrier_signal -1
	s_barrier_wait -1
	ds_store_b64 v6, v[4:5]
	s_wait_dscnt 0x0
	s_barrier_signal -1
	s_barrier_wait -1
	s_wait_xcnt 0x0
	v_cmpx_lt_i32_e64 v12, v2
	s_cbranch_execz .LBB12_4
; %bb.1:
	v_lshlrev_b32_e32 v3, 3, v11
	s_delay_alu instid0(VALU_DEP_1)
	v_lshl_add_u32 v3, v9, 3, v3
.LBB12_2:                               ; =>This Inner Loop Header: Depth=1
	v_sub_nc_u32_e32 v4, v2, v12
	s_delay_alu instid0(VALU_DEP_1) | instskip(NEXT) | instid1(VALU_DEP_1)
	v_lshrrev_b32_e32 v4, 1, v4
	v_add_nc_u32_e32 v16, v4, v12
	s_delay_alu instid0(VALU_DEP_1) | instskip(SKIP_1) | instid1(VALU_DEP_2)
	v_not_b32_e32 v4, v16
	v_lshl_add_u32 v5, v16, 3, v13
	v_lshl_add_u32 v14, v4, 3, v3
	ds_load_b64 v[4:5], v5
	ds_load_b64 v[14:15], v14
	s_wait_dscnt 0x0
	v_cmp_lt_u64_e32 vcc_lo, v[14:15], v[4:5]
	v_add_nc_u32_e32 v4, 1, v16
	s_delay_alu instid0(VALU_DEP_1) | instskip(SKIP_1) | instid1(VALU_DEP_1)
	v_cndmask_b32_e32 v12, v4, v12, vcc_lo
	v_cndmask_b32_e32 v2, v2, v16, vcc_lo
	v_cmp_ge_i32_e32 vcc_lo, v12, v2
	s_or_b32 s3, vcc_lo, s3
	s_delay_alu instid0(SALU_CYCLE_1)
	s_and_not1_b32 exec_lo, exec_lo, s3
	s_cbranch_execnz .LBB12_2
; %bb.3:
	s_or_b32 exec_lo, exec_lo, s3
.LBB12_4:
	s_delay_alu instid0(SALU_CYCLE_1) | instskip(SKIP_3) | instid1(VALU_DEP_2)
	s_or_b32 exec_lo, exec_lo, s2
	v_add_nc_u64_e32 v[4:5], s[4:5], v[0:1]
	v_add_nc_u32_e32 v1, v9, v11
	v_add_nc_u64_e32 v[2:3], s[0:1], v[6:7]
	v_sub_nc_u32_e32 v11, v1, v12
	v_lshl_add_u32 v1, v12, 3, v13
	s_delay_alu instid0(VALU_DEP_2) | instskip(SKIP_1) | instid1(VALU_DEP_2)
	v_dual_add_nc_u32 v12, v12, v10 :: v_dual_lshlrev_b32 v7, 3, v11
	v_cmp_ge_i32_e64 s1, v9, v11
	v_cmp_le_i32_e32 vcc_lo, v9, v12
	ds_load_b64 v[14:15], v1
	ds_load_b64 v[16:17], v7
	s_wait_dscnt 0x0
	s_barrier_signal -1
	s_barrier_wait -1
	ds_store_b8 v0, v8
	s_wait_dscnt 0x0
	s_barrier_signal -1
	s_barrier_wait -1
	v_and_b32_e32 v8, 3, v0
	v_cmp_lt_u64_e64 s0, v[16:17], v[14:15]
	s_or_b32 s0, vcc_lo, s0
	s_delay_alu instid0(SALU_CYCLE_1) | instskip(NEXT) | instid1(SALU_CYCLE_1)
	s_and_b32 vcc_lo, s1, s0
	v_dual_cndmask_b32 v15, v15, v17, vcc_lo :: v_dual_bitop2_b32 v10, 60, v0 bitop3:0x40
	v_cndmask_b32_e32 v9, v12, v11, vcc_lo
	s_mov_b32 s1, 0
	s_mov_b32 s0, exec_lo
	s_delay_alu instid0(VALU_DEP_2)
	v_dual_add_nc_u32 v1, 4, v10 :: v_dual_bitop2_b32 v7, 2, v10 bitop3:0x54
	ds_load_u8 v9, v9
	v_cndmask_b32_e32 v14, v14, v16, vcc_lo
	s_wait_dscnt 0x0
	s_barrier_signal -1
	v_sub_nc_u32_e32 v11, v1, v7
	s_barrier_wait -1
	v_sub_nc_u32_e32 v13, v7, v10
	ds_store_b64 v6, v[14:15]
	v_sub_nc_u32_e32 v12, v8, v11
	v_cmp_ge_i32_e32 vcc_lo, v8, v11
	v_min_i32_e32 v13, v8, v13
	s_wait_dscnt 0x0
	s_barrier_signal -1
	s_barrier_wait -1
	v_dual_cndmask_b32 v11, 0, v12 :: v_dual_lshlrev_b32 v12, 3, v10
	s_delay_alu instid0(VALU_DEP_1)
	v_cmpx_lt_i32_e64 v11, v13
	s_cbranch_execz .LBB12_8
; %bb.5:
	v_lshlrev_b32_e32 v14, 3, v8
	s_delay_alu instid0(VALU_DEP_1)
	v_lshl_add_u32 v14, v7, 3, v14
.LBB12_6:                               ; =>This Inner Loop Header: Depth=1
	v_sub_nc_u32_e32 v15, v13, v11
	s_delay_alu instid0(VALU_DEP_1) | instskip(NEXT) | instid1(VALU_DEP_1)
	v_lshrrev_b32_e32 v15, 1, v15
	v_add_nc_u32_e32 v15, v15, v11
	s_delay_alu instid0(VALU_DEP_1) | instskip(SKIP_1) | instid1(VALU_DEP_2)
	v_not_b32_e32 v16, v15
	v_lshl_add_u32 v17, v15, 3, v12
	v_lshl_add_u32 v18, v16, 3, v14
	ds_load_b64 v[16:17], v17
	ds_load_b64 v[18:19], v18
	s_wait_dscnt 0x0
	v_cmp_lt_u64_e32 vcc_lo, v[18:19], v[16:17]
	v_dual_cndmask_b32 v13, v13, v15 :: v_dual_add_nc_u32 v16, 1, v15
	s_delay_alu instid0(VALU_DEP_1) | instskip(NEXT) | instid1(VALU_DEP_1)
	v_cndmask_b32_e32 v11, v16, v11, vcc_lo
	v_cmp_ge_i32_e32 vcc_lo, v11, v13
	s_or_b32 s1, vcc_lo, s1
	s_delay_alu instid0(SALU_CYCLE_1)
	s_and_not1_b32 exec_lo, exec_lo, s1
	s_cbranch_execnz .LBB12_6
; %bb.7:
	s_or_b32 exec_lo, exec_lo, s1
.LBB12_8:
	s_delay_alu instid0(SALU_CYCLE_1) | instskip(SKIP_1) | instid1(VALU_DEP_1)
	s_or_b32 exec_lo, exec_lo, s0
	v_add_nc_u32_e32 v8, v7, v8
	v_sub_nc_u32_e32 v16, v8, v11
	v_lshl_add_u32 v8, v11, 3, v12
	v_dual_add_nc_u32 v11, v11, v10 :: v_dual_bitop2_b32 v10, 56, v0 bitop3:0x40
	s_delay_alu instid0(VALU_DEP_3) | instskip(SKIP_1) | instid1(VALU_DEP_3)
	v_lshlrev_b32_e32 v14, 3, v16
	v_cmp_gt_i32_e64 s1, v1, v16
	v_cmp_le_i32_e32 vcc_lo, v7, v11
	ds_load_b64 v[12:13], v8
	ds_load_b64 v[14:15], v14
	s_wait_dscnt 0x0
	s_barrier_signal -1
	s_barrier_wait -1
	ds_store_b8 v0, v9
	s_wait_dscnt 0x0
	s_barrier_signal -1
	s_barrier_wait -1
	v_cmp_lt_u64_e64 s0, v[14:15], v[12:13]
	s_or_b32 s0, vcc_lo, s0
	s_delay_alu instid0(SALU_CYCLE_1)
	s_and_b32 vcc_lo, s1, s0
	s_mov_b32 s1, 0
	v_dual_cndmask_b32 v9, v11, v16 :: v_dual_cndmask_b32 v14, v12, v14
	v_dual_cndmask_b32 v15, v13, v15, vcc_lo :: v_dual_bitop2_b32 v8, 4, v10 bitop3:0x54
	v_add_nc_u32_e32 v7, 8, v10
	ds_load_u8 v9, v9
	v_and_b32_e32 v1, 7, v0
	s_mov_b32 s0, exec_lo
	v_dual_sub_nc_u32 v13, v8, v10 :: v_dual_sub_nc_u32 v11, v7, v8
	s_wait_dscnt 0x0
	s_barrier_signal -1
	s_barrier_wait -1
	s_delay_alu instid0(VALU_DEP_1)
	v_dual_sub_nc_u32 v12, v1, v11 :: v_dual_min_i32 v13, v1, v13
	v_cmp_ge_i32_e32 vcc_lo, v1, v11
	ds_store_b64 v6, v[14:15]
	s_wait_dscnt 0x0
	s_barrier_signal -1
	v_dual_cndmask_b32 v11, 0, v12 :: v_dual_lshlrev_b32 v12, 3, v10
	s_barrier_wait -1
	s_delay_alu instid0(VALU_DEP_1)
	v_cmpx_lt_i32_e64 v11, v13
	s_cbranch_execz .LBB12_12
; %bb.9:
	v_lshlrev_b32_e32 v14, 3, v1
	s_delay_alu instid0(VALU_DEP_1)
	v_lshl_add_u32 v14, v8, 3, v14
.LBB12_10:                              ; =>This Inner Loop Header: Depth=1
	v_sub_nc_u32_e32 v15, v13, v11
	s_delay_alu instid0(VALU_DEP_1) | instskip(NEXT) | instid1(VALU_DEP_1)
	v_lshrrev_b32_e32 v15, 1, v15
	v_add_nc_u32_e32 v15, v15, v11
	s_delay_alu instid0(VALU_DEP_1) | instskip(SKIP_1) | instid1(VALU_DEP_2)
	v_not_b32_e32 v16, v15
	v_lshl_add_u32 v17, v15, 3, v12
	v_lshl_add_u32 v18, v16, 3, v14
	ds_load_b64 v[16:17], v17
	ds_load_b64 v[18:19], v18
	s_wait_dscnt 0x0
	v_cmp_lt_u64_e32 vcc_lo, v[18:19], v[16:17]
	v_dual_cndmask_b32 v13, v13, v15 :: v_dual_add_nc_u32 v16, 1, v15
	s_delay_alu instid0(VALU_DEP_1) | instskip(NEXT) | instid1(VALU_DEP_1)
	v_cndmask_b32_e32 v11, v16, v11, vcc_lo
	v_cmp_ge_i32_e32 vcc_lo, v11, v13
	s_or_b32 s1, vcc_lo, s1
	s_delay_alu instid0(SALU_CYCLE_1)
	s_and_not1_b32 exec_lo, exec_lo, s1
	s_cbranch_execnz .LBB12_10
; %bb.11:
	s_or_b32 exec_lo, exec_lo, s1
.LBB12_12:
	s_delay_alu instid0(SALU_CYCLE_1) | instskip(SKIP_1) | instid1(VALU_DEP_1)
	s_or_b32 exec_lo, exec_lo, s0
	v_add_nc_u32_e32 v1, v8, v1
	v_sub_nc_u32_e32 v16, v1, v11
	v_lshl_add_u32 v1, v11, 3, v12
	s_delay_alu instid0(VALU_DEP_2) | instskip(SKIP_1) | instid1(VALU_DEP_2)
	v_dual_add_nc_u32 v11, v11, v10 :: v_dual_lshlrev_b32 v14, 3, v16
	v_cmp_gt_i32_e64 s1, v7, v16
	v_cmp_le_i32_e32 vcc_lo, v8, v11
	ds_load_b64 v[12:13], v1
	ds_load_b64 v[14:15], v14
	s_wait_dscnt 0x0
	s_barrier_signal -1
	s_barrier_wait -1
	ds_store_b8 v0, v9
	s_wait_dscnt 0x0
	s_barrier_signal -1
	s_barrier_wait -1
	v_cmp_lt_u64_e64 s0, v[14:15], v[12:13]
	s_or_b32 s0, vcc_lo, s0
	s_delay_alu instid0(SALU_CYCLE_1) | instskip(NEXT) | instid1(SALU_CYCLE_1)
	s_and_b32 vcc_lo, s1, s0
	v_dual_cndmask_b32 v15, v13, v15, vcc_lo :: v_dual_bitop2_b32 v10, 48, v0 bitop3:0x40
	v_dual_cndmask_b32 v7, v11, v16 :: v_dual_cndmask_b32 v14, v12, v14
	s_mov_b32 s1, 0
	s_delay_alu instid0(VALU_DEP_2)
	v_dual_add_nc_u32 v1, 16, v10 :: v_dual_bitop2_b32 v8, 8, v10 bitop3:0x54
	ds_load_u8 v7, v7
	v_and_b32_e32 v9, 15, v0
	s_mov_b32 s0, exec_lo
	v_dual_sub_nc_u32 v13, v8, v10 :: v_dual_sub_nc_u32 v11, v1, v8
	s_wait_dscnt 0x0
	s_barrier_signal -1
	s_barrier_wait -1
	s_delay_alu instid0(VALU_DEP_1)
	v_dual_sub_nc_u32 v12, v9, v11 :: v_dual_min_i32 v13, v9, v13
	v_cmp_ge_i32_e32 vcc_lo, v9, v11
	ds_store_b64 v6, v[14:15]
	s_wait_dscnt 0x0
	s_barrier_signal -1
	v_dual_cndmask_b32 v11, 0, v12 :: v_dual_lshlrev_b32 v12, 3, v10
	s_barrier_wait -1
	s_delay_alu instid0(VALU_DEP_1)
	v_cmpx_lt_i32_e64 v11, v13
	s_cbranch_execz .LBB12_16
; %bb.13:
	v_lshlrev_b32_e32 v14, 3, v9
	s_delay_alu instid0(VALU_DEP_1)
	v_lshl_add_u32 v14, v8, 3, v14
.LBB12_14:                              ; =>This Inner Loop Header: Depth=1
	v_sub_nc_u32_e32 v15, v13, v11
	s_delay_alu instid0(VALU_DEP_1) | instskip(NEXT) | instid1(VALU_DEP_1)
	v_lshrrev_b32_e32 v15, 1, v15
	v_add_nc_u32_e32 v15, v15, v11
	s_delay_alu instid0(VALU_DEP_1) | instskip(SKIP_1) | instid1(VALU_DEP_2)
	v_not_b32_e32 v16, v15
	v_lshl_add_u32 v17, v15, 3, v12
	v_lshl_add_u32 v18, v16, 3, v14
	ds_load_b64 v[16:17], v17
	ds_load_b64 v[18:19], v18
	s_wait_dscnt 0x0
	v_cmp_lt_u64_e32 vcc_lo, v[18:19], v[16:17]
	v_dual_cndmask_b32 v13, v13, v15 :: v_dual_add_nc_u32 v16, 1, v15
	s_delay_alu instid0(VALU_DEP_1) | instskip(NEXT) | instid1(VALU_DEP_1)
	v_cndmask_b32_e32 v11, v16, v11, vcc_lo
	v_cmp_ge_i32_e32 vcc_lo, v11, v13
	s_or_b32 s1, vcc_lo, s1
	s_delay_alu instid0(SALU_CYCLE_1)
	s_and_not1_b32 exec_lo, exec_lo, s1
	s_cbranch_execnz .LBB12_14
; %bb.15:
	s_or_b32 exec_lo, exec_lo, s1
.LBB12_16:
	s_delay_alu instid0(SALU_CYCLE_1) | instskip(SKIP_1) | instid1(VALU_DEP_1)
	s_or_b32 exec_lo, exec_lo, s0
	v_add_nc_u32_e32 v9, v8, v9
	v_sub_nc_u32_e32 v16, v9, v11
	v_lshl_add_u32 v9, v11, 3, v12
	s_delay_alu instid0(VALU_DEP_2) | instskip(SKIP_1) | instid1(VALU_DEP_2)
	v_dual_add_nc_u32 v11, v11, v10 :: v_dual_lshlrev_b32 v14, 3, v16
	v_cmp_gt_i32_e64 s1, v1, v16
	v_cmp_le_i32_e32 vcc_lo, v8, v11
	ds_load_b64 v[12:13], v9
	ds_load_b64 v[14:15], v14
	s_wait_dscnt 0x0
	s_barrier_signal -1
	s_barrier_wait -1
	ds_store_b8 v0, v7
	s_wait_dscnt 0x0
	s_barrier_signal -1
	s_barrier_wait -1
	v_cmp_lt_u64_e64 s0, v[14:15], v[12:13]
	s_or_b32 s0, vcc_lo, s0
	s_delay_alu instid0(SALU_CYCLE_1) | instskip(NEXT) | instid1(SALU_CYCLE_1)
	s_and_b32 vcc_lo, s1, s0
	v_dual_cndmask_b32 v15, v13, v15, vcc_lo :: v_dual_bitop2_b32 v10, 32, v0 bitop3:0x40
	v_dual_cndmask_b32 v1, v11, v16 :: v_dual_cndmask_b32 v14, v12, v14
	s_mov_b32 s1, 0
	s_delay_alu instid0(VALU_DEP_2)
	v_dual_add_nc_u32 v9, 32, v10 :: v_dual_bitop2_b32 v8, 16, v10 bitop3:0x54
	ds_load_u8 v1, v1
	v_and_b32_e32 v7, 31, v0
	s_mov_b32 s0, exec_lo
	v_dual_sub_nc_u32 v13, v8, v10 :: v_dual_sub_nc_u32 v11, v9, v8
	s_wait_dscnt 0x0
	s_barrier_signal -1
	s_barrier_wait -1
	s_delay_alu instid0(VALU_DEP_1)
	v_dual_sub_nc_u32 v12, v7, v11 :: v_dual_min_i32 v13, v7, v13
	v_cmp_ge_i32_e32 vcc_lo, v7, v11
	ds_store_b64 v6, v[14:15]
	s_wait_dscnt 0x0
	s_barrier_signal -1
	v_dual_cndmask_b32 v11, 0, v12 :: v_dual_lshlrev_b32 v12, 3, v10
	s_barrier_wait -1
	s_delay_alu instid0(VALU_DEP_1)
	v_cmpx_lt_i32_e64 v11, v13
	s_cbranch_execz .LBB12_20
; %bb.17:
	v_lshlrev_b32_e32 v14, 3, v7
	s_delay_alu instid0(VALU_DEP_1)
	v_lshl_add_u32 v14, v8, 3, v14
.LBB12_18:                              ; =>This Inner Loop Header: Depth=1
	v_sub_nc_u32_e32 v15, v13, v11
	s_delay_alu instid0(VALU_DEP_1) | instskip(NEXT) | instid1(VALU_DEP_1)
	v_lshrrev_b32_e32 v15, 1, v15
	v_add_nc_u32_e32 v15, v15, v11
	s_delay_alu instid0(VALU_DEP_1) | instskip(SKIP_1) | instid1(VALU_DEP_2)
	v_not_b32_e32 v16, v15
	v_lshl_add_u32 v17, v15, 3, v12
	v_lshl_add_u32 v18, v16, 3, v14
	ds_load_b64 v[16:17], v17
	ds_load_b64 v[18:19], v18
	s_wait_dscnt 0x0
	v_cmp_lt_u64_e32 vcc_lo, v[18:19], v[16:17]
	v_dual_cndmask_b32 v13, v13, v15 :: v_dual_add_nc_u32 v16, 1, v15
	s_delay_alu instid0(VALU_DEP_1) | instskip(NEXT) | instid1(VALU_DEP_1)
	v_cndmask_b32_e32 v11, v16, v11, vcc_lo
	v_cmp_ge_i32_e32 vcc_lo, v11, v13
	s_or_b32 s1, vcc_lo, s1
	s_delay_alu instid0(SALU_CYCLE_1)
	s_and_not1_b32 exec_lo, exec_lo, s1
	s_cbranch_execnz .LBB12_18
; %bb.19:
	s_or_b32 exec_lo, exec_lo, s1
.LBB12_20:
	s_delay_alu instid0(SALU_CYCLE_1) | instskip(SKIP_2) | instid1(VALU_DEP_2)
	s_or_b32 exec_lo, exec_lo, s0
	v_dual_add_nc_u32 v7, v8, v7 :: v_dual_add_nc_u32 v10, v11, v10
	v_lshl_add_u32 v12, v11, 3, v12
	v_sub_nc_u32_e32 v7, v7, v11
	s_delay_alu instid0(VALU_DEP_3) | instskip(NEXT) | instid1(VALU_DEP_2)
	v_cmp_le_i32_e64 s0, v8, v10
	v_dual_lshlrev_b32 v14, 3, v7 :: v_dual_min_i32 v8, 32, v0
	ds_load_b64 v[12:13], v12
	ds_load_b64 v[14:15], v14
	v_cmp_gt_i32_e64 s1, v9, v7
	s_wait_dscnt 0x0
	s_barrier_signal -1
	s_barrier_wait -1
	ds_store_b8 v0, v1
	s_wait_dscnt 0x0
	s_barrier_signal -1
	s_barrier_wait -1
	v_cmp_lt_u64_e32 vcc_lo, v[14:15], v[12:13]
	s_or_b32 s0, s0, vcc_lo
	s_delay_alu instid0(SALU_CYCLE_1)
	s_and_b32 vcc_lo, s1, s0
	s_mov_b32 s0, exec_lo
	v_cndmask_b32_e32 v7, v10, v7, vcc_lo
	v_dual_cndmask_b32 v11, v13, v15 :: v_dual_cndmask_b32 v10, v12, v14
	ds_load_u8 v1, v7
	v_sub_nc_u32_e64 v7, v0, 32 clamp
	s_wait_dscnt 0x0
	s_barrier_signal -1
	s_barrier_wait -1
	ds_store_b64 v6, v[10:11]
	s_wait_dscnt 0x0
	s_barrier_signal -1
	s_barrier_wait -1
	v_cmpx_lt_i32_e64 v7, v8
	s_cbranch_execz .LBB12_24
; %bb.21:
	v_lshl_add_u32 v6, 32, 3, v6
	s_mov_b32 s1, 0
.LBB12_22:                              ; =>This Inner Loop Header: Depth=1
	v_sub_nc_u32_e32 v9, v8, v7
	s_delay_alu instid0(VALU_DEP_1) | instskip(NEXT) | instid1(VALU_DEP_1)
	v_lshrrev_b32_e32 v9, 1, v9
	v_add_nc_u32_e32 v9, v9, v7
	s_delay_alu instid0(VALU_DEP_1) | instskip(SKIP_1) | instid1(VALU_DEP_2)
	v_not_b32_e32 v10, v9
	v_lshlrev_b32_e32 v11, 3, v9
	v_lshl_add_u32 v12, v10, 3, v6
	ds_load_b64 v[10:11], v11
	ds_load_b64 v[12:13], v12
	s_wait_dscnt 0x0
	v_cmp_lt_u64_e32 vcc_lo, v[12:13], v[10:11]
	v_dual_add_nc_u32 v10, 1, v9 :: v_dual_cndmask_b32 v8, v8, v9, vcc_lo
	s_delay_alu instid0(VALU_DEP_1) | instskip(NEXT) | instid1(VALU_DEP_1)
	v_cndmask_b32_e32 v7, v10, v7, vcc_lo
	v_cmp_ge_i32_e32 vcc_lo, v7, v8
	s_or_b32 s1, vcc_lo, s1
	s_delay_alu instid0(SALU_CYCLE_1)
	s_and_not1_b32 exec_lo, exec_lo, s1
	s_cbranch_execnz .LBB12_22
; %bb.23:
	s_or_b32 exec_lo, exec_lo, s1
.LBB12_24:
	s_delay_alu instid0(SALU_CYCLE_1) | instskip(SKIP_2) | instid1(VALU_DEP_2)
	s_or_b32 exec_lo, exec_lo, s0
	v_dual_add_nc_u32 v6, 32, v0 :: v_dual_lshlrev_b32 v8, 3, v7
	v_cmp_le_i32_e64 s0, 32, v7
	v_sub_nc_u32_e32 v6, v6, v7
	s_delay_alu instid0(VALU_DEP_1)
	v_lshlrev_b32_e32 v10, 3, v6
	v_cmp_gt_i32_e64 s1, 64, v6
	ds_load_b64 v[8:9], v8
	ds_load_b64 v[10:11], v10
	s_wait_dscnt 0x0
	s_barrier_signal -1
	s_barrier_wait -1
	ds_store_b8 v0, v1
	s_wait_dscnt 0x0
	s_barrier_signal -1
	s_barrier_wait -1
	v_cmp_lt_u64_e32 vcc_lo, v[10:11], v[8:9]
	s_or_b32 s0, s0, vcc_lo
	s_delay_alu instid0(SALU_CYCLE_1)
	s_and_b32 vcc_lo, s1, s0
	v_cndmask_b32_e32 v8, v8, v10, vcc_lo
	v_dual_cndmask_b32 v6, v7, v6 :: v_dual_cndmask_b32 v9, v9, v11
	ds_load_u8 v0, v6
	global_store_b64 v[2:3], v[8:9], off
	s_wait_dscnt 0x0
	global_store_b8 v[4:5], v0, off
	s_endpgm
	.section	.rodata,"a",@progbits
	.p2align	6, 0x0
	.amdhsa_kernel _Z21sort_key_value_kernelILj64ELj1EycN10test_utils4lessEEvPT1_PT2_T3_
		.amdhsa_group_segment_fixed_size 520
		.amdhsa_private_segment_fixed_size 0
		.amdhsa_kernarg_size 20
		.amdhsa_user_sgpr_count 2
		.amdhsa_user_sgpr_dispatch_ptr 0
		.amdhsa_user_sgpr_queue_ptr 0
		.amdhsa_user_sgpr_kernarg_segment_ptr 1
		.amdhsa_user_sgpr_dispatch_id 0
		.amdhsa_user_sgpr_kernarg_preload_length 0
		.amdhsa_user_sgpr_kernarg_preload_offset 0
		.amdhsa_user_sgpr_private_segment_size 0
		.amdhsa_wavefront_size32 1
		.amdhsa_uses_dynamic_stack 0
		.amdhsa_enable_private_segment 0
		.amdhsa_system_sgpr_workgroup_id_x 1
		.amdhsa_system_sgpr_workgroup_id_y 0
		.amdhsa_system_sgpr_workgroup_id_z 0
		.amdhsa_system_sgpr_workgroup_info 0
		.amdhsa_system_vgpr_workitem_id 0
		.amdhsa_next_free_vgpr 20
		.amdhsa_next_free_sgpr 8
		.amdhsa_named_barrier_count 0
		.amdhsa_reserve_vcc 1
		.amdhsa_float_round_mode_32 0
		.amdhsa_float_round_mode_16_64 0
		.amdhsa_float_denorm_mode_32 3
		.amdhsa_float_denorm_mode_16_64 3
		.amdhsa_fp16_overflow 0
		.amdhsa_memory_ordered 1
		.amdhsa_forward_progress 1
		.amdhsa_inst_pref_size 19
		.amdhsa_round_robin_scheduling 0
		.amdhsa_exception_fp_ieee_invalid_op 0
		.amdhsa_exception_fp_denorm_src 0
		.amdhsa_exception_fp_ieee_div_zero 0
		.amdhsa_exception_fp_ieee_overflow 0
		.amdhsa_exception_fp_ieee_underflow 0
		.amdhsa_exception_fp_ieee_inexact 0
		.amdhsa_exception_int_div_zero 0
	.end_amdhsa_kernel
	.section	.text._Z21sort_key_value_kernelILj64ELj1EycN10test_utils4lessEEvPT1_PT2_T3_,"axG",@progbits,_Z21sort_key_value_kernelILj64ELj1EycN10test_utils4lessEEvPT1_PT2_T3_,comdat
.Lfunc_end12:
	.size	_Z21sort_key_value_kernelILj64ELj1EycN10test_utils4lessEEvPT1_PT2_T3_, .Lfunc_end12-_Z21sort_key_value_kernelILj64ELj1EycN10test_utils4lessEEvPT1_PT2_T3_
                                        ; -- End function
	.set _Z21sort_key_value_kernelILj64ELj1EycN10test_utils4lessEEvPT1_PT2_T3_.num_vgpr, 20
	.set _Z21sort_key_value_kernelILj64ELj1EycN10test_utils4lessEEvPT1_PT2_T3_.num_agpr, 0
	.set _Z21sort_key_value_kernelILj64ELj1EycN10test_utils4lessEEvPT1_PT2_T3_.numbered_sgpr, 8
	.set _Z21sort_key_value_kernelILj64ELj1EycN10test_utils4lessEEvPT1_PT2_T3_.num_named_barrier, 0
	.set _Z21sort_key_value_kernelILj64ELj1EycN10test_utils4lessEEvPT1_PT2_T3_.private_seg_size, 0
	.set _Z21sort_key_value_kernelILj64ELj1EycN10test_utils4lessEEvPT1_PT2_T3_.uses_vcc, 1
	.set _Z21sort_key_value_kernelILj64ELj1EycN10test_utils4lessEEvPT1_PT2_T3_.uses_flat_scratch, 0
	.set _Z21sort_key_value_kernelILj64ELj1EycN10test_utils4lessEEvPT1_PT2_T3_.has_dyn_sized_stack, 0
	.set _Z21sort_key_value_kernelILj64ELj1EycN10test_utils4lessEEvPT1_PT2_T3_.has_recursion, 0
	.set _Z21sort_key_value_kernelILj64ELj1EycN10test_utils4lessEEvPT1_PT2_T3_.has_indirect_call, 0
	.section	.AMDGPU.csdata,"",@progbits
; Kernel info:
; codeLenInByte = 2348
; TotalNumSgprs: 10
; NumVgprs: 20
; ScratchSize: 0
; MemoryBound: 0
; FloatMode: 240
; IeeeMode: 1
; LDSByteSize: 520 bytes/workgroup (compile time only)
; SGPRBlocks: 0
; VGPRBlocks: 1
; NumSGPRsForWavesPerEU: 10
; NumVGPRsForWavesPerEU: 20
; NamedBarCnt: 0
; Occupancy: 16
; WaveLimiterHint : 0
; COMPUTE_PGM_RSRC2:SCRATCH_EN: 0
; COMPUTE_PGM_RSRC2:USER_SGPR: 2
; COMPUTE_PGM_RSRC2:TRAP_HANDLER: 0
; COMPUTE_PGM_RSRC2:TGID_X_EN: 1
; COMPUTE_PGM_RSRC2:TGID_Y_EN: 0
; COMPUTE_PGM_RSRC2:TGID_Z_EN: 0
; COMPUTE_PGM_RSRC2:TIDIG_COMP_CNT: 0
	.section	.text._Z21sort_key_value_kernelILj256ELj7EtcN10test_utils4lessEEvPT1_PT2_T3_,"axG",@progbits,_Z21sort_key_value_kernelILj256ELj7EtcN10test_utils4lessEEvPT1_PT2_T3_,comdat
	.protected	_Z21sort_key_value_kernelILj256ELj7EtcN10test_utils4lessEEvPT1_PT2_T3_ ; -- Begin function _Z21sort_key_value_kernelILj256ELj7EtcN10test_utils4lessEEvPT1_PT2_T3_
	.globl	_Z21sort_key_value_kernelILj256ELj7EtcN10test_utils4lessEEvPT1_PT2_T3_
	.p2align	8
	.type	_Z21sort_key_value_kernelILj256ELj7EtcN10test_utils4lessEEvPT1_PT2_T3_,@function
_Z21sort_key_value_kernelILj256ELj7EtcN10test_utils4lessEEvPT1_PT2_T3_: ; @_Z21sort_key_value_kernelILj256ELj7EtcN10test_utils4lessEEvPT1_PT2_T3_
; %bb.0:
	s_load_b128 s[0:3], s[0:1], 0x0
	s_bfe_u32 s4, ttmp6, 0x4000c
	s_and_b32 s5, ttmp6, 15
	s_add_co_i32 s4, s4, 1
	s_getreg_b32 s6, hwreg(HW_REG_IB_STS2, 6, 4)
	s_mul_i32 s4, ttmp9, s4
	v_mul_u32_u24_e32 v2, 7, v0
	s_add_co_i32 s5, s5, s4
	s_cmp_eq_u32 s6, 0
	s_mov_b32 s21, 0
	s_cselect_b32 s4, ttmp9, s5
	v_lshlrev_b32_e32 v8, 1, v2
	s_mul_i32 s20, s4, 0x700
	v_and_b32_e32 v13, 0xfe, v0
	s_lshl_b64 s[4:5], s[20:21], 1
	s_mov_b32 s26, exec_lo
	s_delay_alu instid0(VALU_DEP_1)
	v_mul_u32_u24_e32 v13, 7, v13
	s_wait_kmcnt 0x0
	s_add_nc_u64 s[22:23], s[0:1], s[4:5]
	s_add_nc_u64 s[24:25], s[2:3], s[20:21]
	s_clause 0x4
	global_load_b96 v[4:6], v8, s[22:23]
	global_load_u16 v1, v2, s[22:23] offset:12 scale_offset
	global_load_u16 v15, v2, s[24:25] offset:4
	global_load_b32 v10, v2, s[24:25]
	global_load_i8 v16, v2, s[24:25] offset:6
	s_wait_loadcnt 0x0
	s_barrier_signal -1
	s_barrier_wait -1
	v_lshrrev_b32_e32 v3, 16, v4
	v_alignbit_b32 v7, v4, v4, 16
	v_alignbit_b32 v11, v5, v5, 16
	s_delay_alu instid0(VALU_DEP_3) | instskip(NEXT) | instid1(VALU_DEP_1)
	v_cmp_lt_u16_e64 s0, v3, v4
	v_dual_lshrrev_b32 v9, 16, v5 :: v_dual_cndmask_b32 v3, v4, v7, s0
	s_delay_alu instid0(VALU_DEP_1) | instskip(NEXT) | instid1(VALU_DEP_1)
	v_cmp_lt_u16_e64 s1, v9, v5
	v_dual_lshrrev_b32 v9, 16, v6 :: v_dual_cndmask_b32 v4, v5, v11, s1
	s_delay_alu instid0(VALU_DEP_3) | instskip(SKIP_1) | instid1(VALU_DEP_3)
	v_lshrrev_b32_e32 v5, 16, v3
	v_alignbit_b32 v11, v6, v6, 16
	v_cmp_lt_u16_e64 s3, v9, v6
	s_delay_alu instid0(VALU_DEP_4) | instskip(NEXT) | instid1(VALU_DEP_4)
	v_perm_b32 v7, v4, v3, 0x5040100
	v_cmp_lt_u16_e64 s2, v4, v5
	v_bfi_b32 v5, 0xffff, v5, v4
	s_delay_alu instid0(VALU_DEP_1) | instskip(SKIP_1) | instid1(VALU_DEP_2)
	v_dual_cndmask_b32 v7, v3, v7, s2 :: v_dual_cndmask_b32 v4, v4, v5, s2
	v_dual_cndmask_b32 v5, v6, v11, s3 :: v_dual_mov_b32 v3, 0
	v_alignbit_b32 v12, v7, v7, 16
	s_delay_alu instid0(VALU_DEP_3) | instskip(NEXT) | instid1(VALU_DEP_3)
	v_lshrrev_b32_e32 v6, 16, v4
	v_perm_b32 v9, v5, v4, 0x5040100
	s_delay_alu instid0(VALU_DEP_2) | instskip(SKIP_1) | instid1(VALU_DEP_3)
	v_cmp_lt_u16_e32 vcc_lo, v5, v6
	v_bfi_b32 v6, 0xffff, v6, v5
	v_dual_cndmask_b32 v4, v4, v9 :: v_dual_lshrrev_b32 v11, 16, v7
	s_delay_alu instid0(VALU_DEP_1) | instskip(NEXT) | instid1(VALU_DEP_3)
	v_cmp_lt_u16_e64 s15, v11, v7
	v_cndmask_b32_e32 v5, v5, v6, vcc_lo
	s_delay_alu instid0(VALU_DEP_3) | instskip(NEXT) | instid1(VALU_DEP_3)
	v_alignbit_b32 v9, v4, v4, 16
	v_cndmask_b32_e64 v6, v7, v12, s15
	s_delay_alu instid0(VALU_DEP_3) | instskip(SKIP_1) | instid1(VALU_DEP_2)
	v_dual_lshrrev_b32 v7, 16, v4 :: v_dual_lshrrev_b32 v11, 16, v5
	v_perm_b32 v12, v1, v5, 0x5040100
	v_cmp_lt_u16_e64 s9, v7, v4
	s_delay_alu instid0(VALU_DEP_3) | instskip(SKIP_2) | instid1(VALU_DEP_3)
	v_cmp_lt_u16_e64 s12, v1, v11
	v_lshrrev_b32_e32 v14, 16, v6
	v_and_b32_e32 v1, 0xffff, v1
	v_dual_cndmask_b32 v4, v4, v9, s9 :: v_dual_cndmask_b32 v5, v5, v12, s12
	v_dual_mov_b32 v9, v3 :: v_dual_bitop2_b32 v7, 1, v0 bitop3:0x40
	s_delay_alu instid0(VALU_DEP_3) | instskip(NEXT) | instid1(VALU_DEP_3)
	v_cndmask_b32_e64 v11, v1, v11, s12
	v_bfi_b32 v12, 0xffff, v14, v4
	s_delay_alu instid0(VALU_DEP_4) | instskip(SKIP_3) | instid1(VALU_DEP_4)
	v_lshrrev_b32_e32 v18, 16, v5
	v_alignbit_b32 v19, v5, v5, 16
	v_cmp_lt_u16_e64 s16, v4, v14
	v_cmp_eq_u32_e64 s4, 1, v7
	v_cmp_lt_u16_e64 s19, v18, v5
	v_min_u32_e32 v18, 0x6f9, v13
	s_delay_alu instid0(VALU_DEP_4) | instskip(SKIP_2) | instid1(VALU_DEP_2)
	v_cndmask_b32_e64 v12, v4, v12, s16
	v_perm_b32 v4, v4, v6, 0x5040100
	v_cndmask_b32_e64 v17, 0, 7, s4
	v_dual_cndmask_b32 v5, v5, v19, s19 :: v_dual_cndmask_b32 v4, v6, v4, s16
	s_delay_alu instid0(VALU_DEP_1) | instskip(SKIP_1) | instid1(VALU_DEP_3)
	v_perm_b32 v6, v5, v12, 0x5040100
	v_lshrrev_b32_e32 v7, 16, v12
	v_alignbit_b32 v19, v4, v4, 16
	s_delay_alu instid0(VALU_DEP_2) | instskip(NEXT) | instid1(VALU_DEP_1)
	v_cmp_lt_u16_e64 s10, v5, v7
	v_cndmask_b32_e64 v6, v12, v6, s10
	v_bfi_b32 v7, 0xffff, v7, v5
	s_delay_alu instid0(VALU_DEP_1) | instskip(NEXT) | instid1(VALU_DEP_1)
	v_dual_lshrrev_b32 v14, 16, v4 :: v_dual_cndmask_b32 v1, v5, v7, s10
	v_cmp_lt_u16_e64 s13, v14, v4
	s_delay_alu instid0(VALU_DEP_4) | instskip(NEXT) | instid1(VALU_DEP_3)
	v_alignbit_b32 v7, v6, v6, 16
	v_perm_b32 v14, v11, v1, 0x5040100
	s_delay_alu instid0(VALU_DEP_3) | instskip(SKIP_1) | instid1(VALU_DEP_2)
	v_dual_cndmask_b32 v5, v4, v19, s13 :: v_dual_lshrrev_b32 v4, 16, v6
	v_min_u32_e32 v19, 0x700, v13
	v_cmp_lt_u16_e64 s8, v4, v6
	s_delay_alu instid0(VALU_DEP_1) | instskip(NEXT) | instid1(VALU_DEP_1)
	v_dual_lshrrev_b32 v12, 16, v1 :: v_dual_cndmask_b32 v4, v6, v7, s8
	v_cmp_lt_u16_e64 s11, v11, v12
	v_lshrrev_b32_e32 v20, 16, v5
	v_min_u32_e32 v7, 0x6f2, v13
	s_delay_alu instid0(VALU_DEP_4) | instskip(NEXT) | instid1(VALU_DEP_4)
	v_perm_b32 v24, v4, v5, 0x5040100
	v_cndmask_b32_e64 v6, v1, v14, s11
	s_delay_alu instid0(VALU_DEP_4) | instskip(SKIP_2) | instid1(VALU_DEP_4)
	v_bfi_b32 v13, 0xffff, v20, v4
	v_cmp_lt_u16_e64 s14, v4, v20
	v_dual_add_nc_u32 v1, 7, v18 :: v_dual_add_nc_u32 v14, 14, v7
	v_lshrrev_b32_e32 v21, 16, v6
	v_alignbit_b32 v22, v6, v6, 16
	s_delay_alu instid0(VALU_DEP_4) | instskip(NEXT) | instid1(VALU_DEP_4)
	v_cndmask_b32_e64 v13, v4, v13, s14
	v_sub_nc_u32_e32 v23, v14, v1
	s_delay_alu instid0(VALU_DEP_4) | instskip(NEXT) | instid1(VALU_DEP_3)
	v_cmp_lt_u16_e64 s18, v21, v6
	v_dual_lshlrev_b32 v20, 1, v19 :: v_dual_lshrrev_b32 v7, 16, v13
	s_delay_alu instid0(VALU_DEP_2) | instskip(NEXT) | instid1(VALU_DEP_1)
	v_dual_cndmask_b32 v6, v6, v22, s18 :: v_dual_sub_nc_u32 v22, v1, v19
	v_perm_b32 v21, v6, v13, 0x5040100
	s_delay_alu instid0(VALU_DEP_3) | instskip(SKIP_1) | instid1(VALU_DEP_4)
	v_cmp_lt_u16_e64 s7, v6, v7
	v_bfi_b32 v7, 0xffff, v7, v6
	v_min_i32_e32 v4, v17, v22
	s_delay_alu instid0(VALU_DEP_2) | instskip(SKIP_3) | instid1(VALU_DEP_4)
	v_dual_cndmask_b32 v13, v13, v21, s7 :: v_dual_cndmask_b32 v6, v6, v7, s7
	v_dual_cndmask_b32 v7, v11, v12, s11 :: v_dual_sub_nc_u32 v11, v17, v23
	v_cndmask_b32_e64 v5, v5, v24, s14
	v_cmp_ge_i32_e64 s4, v17, v23
	v_lshrrev_b32_e32 v12, 16, v6
	s_delay_alu instid0(VALU_DEP_4)
	v_perm_b32 v22, v7, v6, 0x5040100
	v_alignbit_b32 v25, v13, v13, 16
	v_alignbit_b32 v23, v5, v5, 16
	v_cndmask_b32_e64 v21, 0, v11, s4
	v_cmp_lt_u16_e64 s4, v7, v12
	v_and_b32_e32 v11, 0xffff, v15
	s_delay_alu instid0(VALU_DEP_2) | instskip(NEXT) | instid1(VALU_DEP_1)
	v_dual_cndmask_b32 v6, v6, v22, s4 :: v_dual_lshrrev_b32 v22, 16, v5
	v_lshrrev_b32_e32 v26, 16, v6
	s_delay_alu instid0(VALU_DEP_2) | instskip(SKIP_2) | instid1(VALU_DEP_4)
	v_cmp_lt_u16_e64 s17, v22, v5
	v_lshrrev_b32_e32 v24, 16, v13
	v_alignbit_b32 v27, v6, v6, 16
	v_cmp_lt_u16_e64 s5, v26, v6
	s_delay_alu instid0(VALU_DEP_4) | instskip(NEXT) | instid1(VALU_DEP_4)
	v_cndmask_b32_e64 v22, v5, v23, s17
	v_cmp_lt_u16_e64 s6, v24, v13
	s_delay_alu instid0(VALU_DEP_3) | instskip(NEXT) | instid1(VALU_DEP_2)
	v_dual_cndmask_b32 v5, v7, v12, s4 :: v_dual_cndmask_b32 v24, v6, v27, s5
	v_cndmask_b32_e64 v23, v13, v25, s6
	v_lshrrev_b64 v[12:13], 24, v[10:11]
	ds_store_b96 v8, v[22:24]
	ds_store_b16 v8, v5 offset:12
	s_wait_dscnt 0x0
	s_barrier_signal -1
	s_barrier_wait -1
	s_wait_xcnt 0x0
	v_cmpx_lt_i32_e64 v21, v4
	s_cbranch_execz .LBB13_4
; %bb.1:
	v_lshlrev_b32_e32 v5, 1, v17
	s_delay_alu instid0(VALU_DEP_1)
	v_lshl_add_u32 v5, v18, 1, v5
.LBB13_2:                               ; =>This Inner Loop Header: Depth=1
	v_sub_nc_u32_e32 v6, v4, v21
	s_delay_alu instid0(VALU_DEP_1) | instskip(NEXT) | instid1(VALU_DEP_1)
	v_lshrrev_b32_e32 v6, 1, v6
	v_add_nc_u32_e32 v6, v6, v21
	s_delay_alu instid0(VALU_DEP_1) | instskip(SKIP_1) | instid1(VALU_DEP_2)
	v_not_b32_e32 v7, v6
	v_lshl_add_u32 v13, v6, 1, v20
	v_lshl_add_u32 v7, v7, 1, v5
	ds_load_u16 v13, v13
	ds_load_u16 v7, v7 offset:14
	s_wait_dscnt 0x0
	v_cmp_lt_u16_e64 s20, v7, v13
	s_delay_alu instid0(VALU_DEP_1) | instskip(NEXT) | instid1(VALU_DEP_1)
	v_dual_add_nc_u32 v22, 1, v6 :: v_dual_cndmask_b32 v4, v4, v6, s20
	v_cndmask_b32_e64 v21, v22, v21, s20
	s_delay_alu instid0(VALU_DEP_1) | instskip(SKIP_1) | instid1(SALU_CYCLE_1)
	v_cmp_ge_i32_e64 s20, v21, v4
	s_or_b32 s21, s20, s21
	s_and_not1_b32 exec_lo, exec_lo, s21
	s_cbranch_execnz .LBB13_2
; %bb.3:
	s_or_b32 exec_lo, exec_lo, s21
.LBB13_4:
	s_delay_alu instid0(SALU_CYCLE_1)
	s_or_b32 exec_lo, exec_lo, s26
	v_add_nc_u64_e32 v[4:5], s[24:25], v[2:3]
	v_dual_lshrrev_b32 v25, 8, v11 :: v_dual_add_nc_u32 v3, v18, v17
	v_lshl_add_u32 v18, v21, 1, v20
	v_add_nc_u64_e32 v[6:7], s[22:23], v[8:9]
	v_dual_add_nc_u32 v9, v21, v19 :: v_dual_lshrrev_b32 v27, 16, v10
	s_delay_alu instid0(VALU_DEP_4) | instskip(SKIP_1) | instid1(VALU_DEP_3)
	v_dual_lshrrev_b32 v26, 8, v10 :: v_dual_sub_nc_u32 v3, v3, v21
	v_add_nc_u32_e32 v13, v1, v17
	v_cmp_le_i32_e64 s20, v1, v9
                                        ; implicit-def: $vgpr17
	s_delay_alu instid0(VALU_DEP_3) | instskip(SKIP_3) | instid1(VALU_DEP_1)
	v_lshlrev_b32_e32 v20, 1, v3
	ds_load_u16 v3, v18
	ds_load_u16 v11, v20 offset:14
	v_sub_nc_u32_e32 v13, v13, v21
	v_cmp_gt_i32_e64 s22, v14, v13
	s_wait_dscnt 0x0
	v_cmp_lt_u16_e64 s21, v11, v3
	s_or_b32 s20, s20, s21
	s_delay_alu instid0(SALU_CYCLE_1) | instskip(NEXT) | instid1(SALU_CYCLE_1)
	s_and_b32 s20, s22, s20
	s_xor_b32 s21, s20, -1
	s_delay_alu instid0(SALU_CYCLE_1) | instskip(NEXT) | instid1(SALU_CYCLE_1)
	s_and_saveexec_b32 s22, s21
	s_xor_b32 s21, exec_lo, s22
; %bb.5:
	ds_load_u16 v17, v18 offset:2
                                        ; implicit-def: $vgpr20
; %bb.6:
	s_or_saveexec_b32 s21, s21
	v_mov_b32_e32 v18, v11
	s_xor_b32 exec_lo, exec_lo, s21
	s_cbranch_execz .LBB13_8
; %bb.7:
	ds_load_u16 v18, v20 offset:16
	s_wait_dscnt 0x1
	v_mov_b32_e32 v17, v3
.LBB13_8:
	s_or_b32 exec_lo, exec_lo, s21
	v_add_nc_u32_e32 v20, 1, v13
	v_add_nc_u32_e32 v19, 1, v9
	s_wait_dscnt 0x0
	v_cmp_lt_u16_e64 s22, v18, v17
                                        ; implicit-def: $vgpr21
	s_delay_alu instid0(VALU_DEP_2) | instskip(NEXT) | instid1(VALU_DEP_1)
	v_dual_cndmask_b32 v20, v13, v20, s20 :: v_dual_cndmask_b32 v19, v19, v9, s20
	v_cmp_lt_i32_e64 s23, v20, v14
	s_delay_alu instid0(VALU_DEP_2) | instskip(SKIP_1) | instid1(SALU_CYCLE_1)
	v_cmp_ge_i32_e64 s21, v19, v1
	s_or_b32 s21, s21, s22
	s_and_b32 s21, s23, s21
	s_delay_alu instid0(SALU_CYCLE_1) | instskip(NEXT) | instid1(SALU_CYCLE_1)
	s_xor_b32 s22, s21, -1
	s_and_saveexec_b32 s23, s22
	s_delay_alu instid0(SALU_CYCLE_1)
	s_xor_b32 s22, exec_lo, s23
; %bb.9:
	v_lshlrev_b32_e32 v21, 1, v19
	ds_load_u16 v21, v21 offset:2
; %bb.10:
	s_or_saveexec_b32 s22, s22
	v_mov_b32_e32 v22, v18
	s_xor_b32 exec_lo, exec_lo, s22
	s_cbranch_execz .LBB13_12
; %bb.11:
	s_wait_dscnt 0x0
	v_lshlrev_b32_e32 v21, 1, v20
	ds_load_u16 v22, v21 offset:2
	v_mov_b32_e32 v21, v17
.LBB13_12:
	s_or_b32 exec_lo, exec_lo, s22
	v_dual_add_nc_u32 v23, 1, v19 :: v_dual_add_nc_u32 v24, 1, v20
	s_wait_dscnt 0x0
	s_delay_alu instid0(VALU_DEP_2) | instskip(NEXT) | instid1(VALU_DEP_2)
	v_cmp_lt_u16_e64 s23, v22, v21
                                        ; implicit-def: $vgpr28
	v_dual_cndmask_b32 v23, v23, v19, s21 :: v_dual_cndmask_b32 v24, v20, v24, s21
	s_delay_alu instid0(VALU_DEP_1) | instskip(NEXT) | instid1(VALU_DEP_2)
	v_cmp_ge_i32_e64 s22, v23, v1
	v_cmp_lt_i32_e64 s24, v24, v14
	s_or_b32 s22, s22, s23
	s_delay_alu instid0(SALU_CYCLE_1) | instskip(NEXT) | instid1(SALU_CYCLE_1)
	s_and_b32 s22, s24, s22
	s_xor_b32 s23, s22, -1
	s_delay_alu instid0(SALU_CYCLE_1) | instskip(NEXT) | instid1(SALU_CYCLE_1)
	s_and_saveexec_b32 s24, s23
	s_xor_b32 s23, exec_lo, s24
; %bb.13:
	v_lshlrev_b32_e32 v28, 1, v23
	ds_load_u16 v28, v28 offset:2
; %bb.14:
	s_or_saveexec_b32 s23, s23
	v_mov_b32_e32 v29, v22
	s_xor_b32 exec_lo, exec_lo, s23
	s_cbranch_execz .LBB13_16
; %bb.15:
	s_wait_dscnt 0x0
	v_lshlrev_b32_e32 v28, 1, v24
	ds_load_u16 v29, v28 offset:2
	v_mov_b32_e32 v28, v21
.LBB13_16:
	s_or_b32 exec_lo, exec_lo, s23
	v_dual_add_nc_u32 v30, 1, v23 :: v_dual_add_nc_u32 v31, 1, v24
	s_wait_dscnt 0x0
	s_delay_alu instid0(VALU_DEP_2) | instskip(NEXT) | instid1(VALU_DEP_2)
	v_cmp_lt_u16_e64 s24, v29, v28
                                        ; implicit-def: $vgpr36
	v_cndmask_b32_e64 v32, v30, v23, s22
	s_delay_alu instid0(VALU_DEP_3) | instskip(NEXT) | instid1(VALU_DEP_2)
	v_cndmask_b32_e64 v34, v24, v31, s22
	v_cmp_ge_i32_e64 s23, v32, v1
	s_delay_alu instid0(VALU_DEP_2) | instskip(SKIP_1) | instid1(SALU_CYCLE_1)
	v_cmp_lt_i32_e64 s25, v34, v14
	s_or_b32 s23, s23, s24
	s_and_b32 s24, s25, s23
	s_delay_alu instid0(SALU_CYCLE_1) | instskip(NEXT) | instid1(SALU_CYCLE_1)
	s_xor_b32 s23, s24, -1
	s_and_saveexec_b32 s25, s23
	s_delay_alu instid0(SALU_CYCLE_1)
	s_xor_b32 s23, exec_lo, s25
; %bb.17:
	v_lshlrev_b32_e32 v30, 1, v32
	ds_load_u16 v36, v30 offset:2
; %bb.18:
	s_or_saveexec_b32 s23, s23
	v_mov_b32_e32 v37, v29
	s_xor_b32 exec_lo, exec_lo, s23
	s_cbranch_execz .LBB13_20
; %bb.19:
	s_wait_dscnt 0x0
	v_dual_lshlrev_b32 v30, 1, v34 :: v_dual_mov_b32 v36, v28
	ds_load_u16 v37, v30 offset:2
.LBB13_20:
	s_or_b32 exec_lo, exec_lo, s23
	v_dual_add_nc_u32 v30, 1, v32 :: v_dual_add_nc_u32 v31, 1, v34
	s_wait_dscnt 0x0
	v_cmp_lt_u16_e64 s25, v37, v36
                                        ; implicit-def: $vgpr40
	s_delay_alu instid0(VALU_DEP_2) | instskip(NEXT) | instid1(VALU_DEP_3)
	v_cndmask_b32_e64 v38, v30, v32, s24
	v_cndmask_b32_e64 v39, v34, v31, s24
	s_delay_alu instid0(VALU_DEP_2) | instskip(NEXT) | instid1(VALU_DEP_2)
	v_cmp_ge_i32_e64 s23, v38, v1
	v_cmp_lt_i32_e64 s26, v39, v14
	s_or_b32 s23, s23, s25
	s_delay_alu instid0(SALU_CYCLE_1) | instskip(NEXT) | instid1(SALU_CYCLE_1)
	s_and_b32 s25, s26, s23
	s_xor_b32 s23, s25, -1
	s_delay_alu instid0(SALU_CYCLE_1) | instskip(NEXT) | instid1(SALU_CYCLE_1)
	s_and_saveexec_b32 s26, s23
	s_xor_b32 s23, exec_lo, s26
; %bb.21:
	v_lshlrev_b32_e32 v30, 1, v38
	ds_load_u16 v40, v30 offset:2
; %bb.22:
	s_or_saveexec_b32 s23, s23
	v_mov_b32_e32 v41, v37
	s_xor_b32 exec_lo, exec_lo, s23
	s_cbranch_execz .LBB13_24
; %bb.23:
	s_wait_dscnt 0x0
	v_dual_lshlrev_b32 v30, 1, v39 :: v_dual_mov_b32 v40, v36
	ds_load_u16 v41, v30 offset:2
.LBB13_24:
	s_or_b32 exec_lo, exec_lo, s23
	v_dual_add_nc_u32 v30, 1, v38 :: v_dual_add_nc_u32 v33, 1, v39
	s_wait_dscnt 0x0
	v_cmp_lt_u16_e64 s26, v41, v40
	s_delay_alu instid0(VALU_DEP_2) | instskip(NEXT) | instid1(VALU_DEP_1)
	v_dual_cndmask_b32 v31, v30, v38, s25 :: v_dual_cndmask_b32 v33, v39, v33, s25
                                        ; implicit-def: $vgpr30
	v_cmp_ge_i32_e64 s23, v31, v1
	s_delay_alu instid0(VALU_DEP_2) | instskip(SKIP_1) | instid1(SALU_CYCLE_1)
	v_cmp_lt_i32_e64 s27, v33, v14
	s_or_b32 s23, s23, s26
	s_and_b32 s23, s27, s23
	s_delay_alu instid0(SALU_CYCLE_1) | instskip(NEXT) | instid1(SALU_CYCLE_1)
	s_xor_b32 s26, s23, -1
	s_and_saveexec_b32 s27, s26
	s_delay_alu instid0(SALU_CYCLE_1)
	s_xor_b32 s26, exec_lo, s27
; %bb.25:
	v_lshlrev_b32_e32 v30, 1, v31
	ds_load_u16 v30, v30 offset:2
; %bb.26:
	s_or_saveexec_b32 s26, s26
	v_mov_b32_e32 v35, v41
	s_xor_b32 exec_lo, exec_lo, s26
	s_cbranch_execz .LBB13_28
; %bb.27:
	s_wait_dscnt 0x0
	v_lshlrev_b32_e32 v30, 1, v33
	ds_load_u16 v35, v30 offset:2
	v_mov_b32_e32 v30, v40
.LBB13_28:
	s_or_b32 exec_lo, exec_lo, s26
	v_perm_b32 v42, v27, v12, 0xc0c0004
	v_perm_b32 v43, v10, v26, 0xc0c0004
	;; [unrolled: 1-line block ×3, first 2 shown]
	v_and_b32_e32 v16, 0xff, v16
	v_perm_b32 v10, v26, v10, 0xc0c0004
	v_lshlrev_b32_e32 v27, 16, v42
	v_perm_b32 v15, v15, v25, 0xc0c0004
	v_dual_lshlrev_b32 v12, 16, v12 :: v_dual_cndmask_b32 v28, v28, v29, s24
	s_delay_alu instid0(VALU_DEP_3) | instskip(SKIP_1) | instid1(VALU_DEP_3)
	v_dual_cndmask_b32 v21, v21, v22, s22 :: v_dual_bitop2_b32 v26, v43, v27 bitop3:0x54
	v_lshlrev_b32_e32 v16, 16, v16
	v_dual_cndmask_b32 v12, v27, v12, s1 :: v_dual_cndmask_b32 v29, v32, v34, s24
	s_delay_alu instid0(VALU_DEP_3) | instskip(SKIP_3) | instid1(VALU_DEP_2)
	v_dual_cndmask_b32 v22, v23, v24, s22 :: v_dual_cndmask_b32 v10, v26, v10, s0
	v_dual_cndmask_b32 v36, v36, v37, s25 :: v_dual_cndmask_b32 v37, v38, v39, s25
	s_wait_dscnt 0x0
	s_barrier_signal -1
	v_and_or_b32 v10, 0xffff, v10, v12
	v_or_b32_e32 v15, v15, v16
	s_barrier_wait -1
	v_add_nc_u32_e32 v26, 1, v31
	s_delay_alu instid0(VALU_DEP_3) | instskip(SKIP_2) | instid1(VALU_DEP_3)
	v_perm_b32 v16, v10, v10, 0x7050604
	v_cndmask_b32_e64 v18, v17, v18, s21
	v_dual_cndmask_b32 v9, v9, v13, s20 :: v_dual_bitop2_b32 v17, 3, v0 bitop3:0x40
	v_cndmask_b32_e64 v10, v10, v16, s2
	v_perm_b32 v12, v15, v15, 0x7060405
	s_mov_b32 s2, 0
	s_delay_alu instid0(VALU_DEP_3) | instskip(NEXT) | instid1(VALU_DEP_2)
	v_mul_u32_u24_e32 v17, 7, v17
	v_dual_lshrrev_b32 v16, 16, v10 :: v_dual_cndmask_b32 v12, v15, v12, s3
	s_delay_alu instid0(VALU_DEP_1) | instskip(NEXT) | instid1(VALU_DEP_1)
	v_lshlrev_b16 v15, 8, v12
	v_bitop3_b16 v15, v16, v15, 0xff bitop3:0xec
	s_delay_alu instid0(VALU_DEP_1) | instskip(NEXT) | instid1(VALU_DEP_1)
	v_lshlrev_b32_e32 v15, 16, v15
	v_and_or_b32 v15, 0xffff, v10, v15
	s_delay_alu instid0(VALU_DEP_1) | instskip(SKIP_1) | instid1(VALU_DEP_2)
	v_cndmask_b32_e32 v15, v10, v15, vcc_lo
	v_perm_b32 v10, v10, v12, 0x3020107
	v_perm_b32 v16, 0, v15, 0xc0c0001
	s_delay_alu instid0(VALU_DEP_2) | instskip(SKIP_1) | instid1(VALU_DEP_3)
	v_cndmask_b32_e32 v10, v12, v10, vcc_lo
	v_cmp_lt_u16_e32 vcc_lo, v35, v30
	v_and_or_b32 v12, 0xffff0000, v15, v16
	s_delay_alu instid0(VALU_DEP_3) | instskip(SKIP_1) | instid1(VALU_DEP_3)
	v_lshrrev_b32_e32 v16, 16, v10
	v_lshrrev_b16 v25, 8, v10
	v_cndmask_b32_e64 v12, v15, v12, s15
	s_delay_alu instid0(VALU_DEP_3) | instskip(NEXT) | instid1(VALU_DEP_3)
	v_lshlrev_b16 v15, 8, v16
	v_lshlrev_b32_e32 v25, 16, v25
	s_delay_alu instid0(VALU_DEP_2) | instskip(NEXT) | instid1(VALU_DEP_1)
	v_bitop3_b16 v15, v10, v15, 0xff bitop3:0xec
	v_and_b32_e32 v15, 0xffff, v15
	s_delay_alu instid0(VALU_DEP_1) | instskip(NEXT) | instid1(VALU_DEP_1)
	v_dual_lshrrev_b32 v16, 16, v12 :: v_dual_bitop2_b32 v15, v15, v25 bitop3:0x54
	v_perm_b32 v16, 0, v16, 0xc0c0001
	s_delay_alu instid0(VALU_DEP_1) | instskip(NEXT) | instid1(VALU_DEP_1)
	v_dual_cndmask_b32 v10, v10, v15, s12 :: v_dual_lshlrev_b32 v16, 16, v16
	v_perm_b32 v15, v10, v10, 0x7060405
	s_delay_alu instid0(VALU_DEP_2) | instskip(NEXT) | instid1(VALU_DEP_1)
	v_and_or_b32 v16, 0xffff, v12, v16
	v_dual_cndmask_b32 v10, v10, v15, s19 :: v_dual_cndmask_b32 v12, v12, v16, s9
	s_delay_alu instid0(VALU_DEP_1) | instskip(NEXT) | instid1(VALU_DEP_2)
	v_lshlrev_b16 v15, 8, v10
	v_perm_b32 v16, v12, v12, 0x7050604
	s_delay_alu instid0(VALU_DEP_1) | instskip(NEXT) | instid1(VALU_DEP_1)
	v_cndmask_b32_e64 v12, v12, v16, s16
	v_lshrrev_b32_e32 v16, 16, v12
	s_delay_alu instid0(VALU_DEP_1) | instskip(NEXT) | instid1(VALU_DEP_1)
	v_bitop3_b16 v15, v16, v15, 0xff bitop3:0xec
	v_lshlrev_b32_e32 v15, 16, v15
	s_delay_alu instid0(VALU_DEP_1) | instskip(NEXT) | instid1(VALU_DEP_1)
	v_and_or_b32 v15, 0xffff, v12, v15
	v_cndmask_b32_e64 v15, v12, v15, s10
	v_perm_b32 v12, v12, v10, 0x3020107
	s_delay_alu instid0(VALU_DEP_2) | instskip(NEXT) | instid1(VALU_DEP_2)
	v_perm_b32 v16, 0, v15, 0xc0c0001
	v_cndmask_b32_e64 v10, v10, v12, s10
	s_delay_alu instid0(VALU_DEP_2) | instskip(NEXT) | instid1(VALU_DEP_1)
	v_and_or_b32 v12, 0xffff0000, v15, v16
	v_cndmask_b32_e64 v12, v15, v12, s13
	s_delay_alu instid0(VALU_DEP_3) | instskip(NEXT) | instid1(VALU_DEP_1)
	v_lshrrev_b16 v25, 8, v10
	v_dual_lshrrev_b32 v16, 16, v10 :: v_dual_lshlrev_b32 v25, 16, v25
	s_delay_alu instid0(VALU_DEP_1) | instskip(NEXT) | instid1(VALU_DEP_1)
	v_lshlrev_b16 v15, 8, v16
	v_bitop3_b16 v15, v10, v15, 0xff bitop3:0xec
	s_delay_alu instid0(VALU_DEP_1) | instskip(NEXT) | instid1(VALU_DEP_1)
	v_and_b32_e32 v15, 0xffff, v15
	v_dual_lshrrev_b32 v16, 16, v12 :: v_dual_bitop2_b32 v15, v15, v25 bitop3:0x54
	s_delay_alu instid0(VALU_DEP_1) | instskip(NEXT) | instid1(VALU_DEP_2)
	v_perm_b32 v16, 0, v16, 0xc0c0001
	v_dual_cndmask_b32 v25, v40, v41, s23 :: v_dual_cndmask_b32 v10, v10, v15, s11
	s_delay_alu instid0(VALU_DEP_2) | instskip(NEXT) | instid1(VALU_DEP_2)
	v_lshlrev_b32_e32 v16, 16, v16
	v_perm_b32 v15, v10, v10, 0x7060405
	s_delay_alu instid0(VALU_DEP_2) | instskip(NEXT) | instid1(VALU_DEP_1)
	v_and_or_b32 v16, 0xffff, v12, v16
	v_dual_cndmask_b32 v10, v10, v15, s18 :: v_dual_cndmask_b32 v12, v12, v16, s8
	s_delay_alu instid0(VALU_DEP_1) | instskip(NEXT) | instid1(VALU_DEP_2)
	v_lshlrev_b16 v15, 8, v10
	v_perm_b32 v16, v12, v12, 0x7050604
	s_delay_alu instid0(VALU_DEP_1) | instskip(NEXT) | instid1(VALU_DEP_1)
	v_cndmask_b32_e64 v12, v12, v16, s14
	v_lshrrev_b32_e32 v16, 16, v12
	s_delay_alu instid0(VALU_DEP_1) | instskip(NEXT) | instid1(VALU_DEP_1)
	v_bitop3_b16 v15, v16, v15, 0xff bitop3:0xec
	v_dual_add_nc_u32 v16, 1, v33 :: v_dual_lshlrev_b32 v15, 16, v15
	s_delay_alu instid0(VALU_DEP_1) | instskip(NEXT) | instid1(VALU_DEP_2)
	v_cndmask_b32_e64 v23, v33, v16, s23
	v_and_or_b32 v15, 0xffff, v12, v15
	s_delay_alu instid0(VALU_DEP_1) | instskip(SKIP_1) | instid1(VALU_DEP_2)
	v_dual_cndmask_b32 v27, v31, v33, s23 :: v_dual_cndmask_b32 v15, v12, v15, s7
	v_perm_b32 v12, v12, v10, 0x3020107
	v_perm_b32 v32, 0, v15, 0xc0c0001
	s_delay_alu instid0(VALU_DEP_2) | instskip(SKIP_2) | instid1(VALU_DEP_4)
	v_cndmask_b32_e64 v10, v10, v12, s7
	v_cndmask_b32_e64 v19, v19, v20, s21
	;; [unrolled: 1-line block ×3, first 2 shown]
	v_and_or_b32 v12, 0xffff0000, v15, v32
	s_delay_alu instid0(VALU_DEP_4) | instskip(SKIP_1) | instid1(VALU_DEP_3)
	v_lshrrev_b32_e32 v3, 16, v10
	v_lshrrev_b16 v13, 8, v10
	v_cndmask_b32_e64 v11, v15, v12, s17
	s_delay_alu instid0(VALU_DEP_3) | instskip(NEXT) | instid1(VALU_DEP_3)
	v_lshlrev_b16 v3, 8, v3
	v_lshlrev_b32_e32 v13, 16, v13
	v_and_b32_e32 v15, 0xfc, v0
	s_delay_alu instid0(VALU_DEP_4) | instskip(NEXT) | instid1(VALU_DEP_4)
	v_lshrrev_b32_e32 v12, 16, v11
	v_bitop3_b16 v3, v10, v3, 0xff bitop3:0xec
	s_delay_alu instid0(VALU_DEP_3) | instskip(NEXT) | instid1(VALU_DEP_3)
	v_mul_u32_u24_e32 v24, 7, v15
	v_perm_b32 v12, 0, v12, 0xc0c0001
	s_delay_alu instid0(VALU_DEP_3) | instskip(NEXT) | instid1(VALU_DEP_3)
	v_and_b32_e32 v3, 0xffff, v3
	v_min_u32_e32 v16, 0x6f2, v24
	s_delay_alu instid0(VALU_DEP_2) | instskip(SKIP_2) | instid1(VALU_DEP_4)
	v_dual_lshlrev_b32 v12, 16, v12 :: v_dual_bitop2_b32 v3, v3, v13 bitop3:0x54
	v_cndmask_b32_e64 v13, v26, v31, s23
	v_cmp_lt_i32_e64 s0, v23, v14
	v_add_nc_u32_e32 v15, 14, v16
	s_delay_alu instid0(VALU_DEP_4) | instskip(SKIP_2) | instid1(VALU_DEP_3)
	v_and_or_b32 v12, 0xffff, v11, v12
	v_cndmask_b32_e64 v3, v10, v3, s4
	v_cmp_ge_i32_e64 s1, v13, v1
	v_cndmask_b32_e64 v10, v11, v12, s6
	s_delay_alu instid0(VALU_DEP_3) | instskip(SKIP_2) | instid1(VALU_DEP_2)
	v_perm_b32 v1, v3, v3, 0x7060405
	v_min_u32_e32 v11, 0x6e4, v24
	s_or_b32 s1, s1, vcc_lo
	v_dual_lshrrev_b32 v12, 16, v10 :: v_dual_cndmask_b32 v1, v3, v1, s5
	s_delay_alu instid0(VALU_DEP_2) | instskip(SKIP_2) | instid1(VALU_DEP_2)
	v_add_nc_u32_e32 v14, 28, v11
	s_and_b32 vcc_lo, s0, s1
	s_mov_b32 s0, exec_lo
	v_perm_b32 v3, v10, v12, 0x7000504
	v_cndmask_b32_e32 v11, v13, v23, vcc_lo
	v_dual_cndmask_b32 v26, v30, v35, vcc_lo :: v_dual_lshrrev_b32 v10, 8, v1
	ds_store_b32 v2, v3
	ds_store_b8 v2, v1 offset:4
	ds_store_b8 v2, v10 offset:5
	ds_store_b8_d16_hi v2, v1 offset:6
	s_wait_dscnt 0x0
	s_barrier_signal -1
	s_barrier_wait -1
	ds_load_u8 v3, v9
	ds_load_u8 v1, v11
	;; [unrolled: 1-line block ×7, first 2 shown]
	v_sub_nc_u32_e32 v30, v14, v15
	v_min_u32_e32 v19, 0x700, v24
	v_perm_b32 v24, v25, v36, 0x5040100
	v_perm_b32 v23, v28, v21, 0x5040100
	;; [unrolled: 1-line block ×3, first 2 shown]
	s_delay_alu instid0(VALU_DEP_4)
	v_dual_sub_nc_u32 v25, v17, v30 :: v_dual_sub_nc_u32 v27, v15, v19
	v_cmp_ge_i32_e32 vcc_lo, v17, v30
	v_lshlrev_b32_e32 v18, 1, v19
	s_wait_dscnt 0x0
	s_barrier_signal -1
	v_dual_cndmask_b32 v20, 0, v25 :: v_dual_min_i32 v21, v17, v27
	s_barrier_wait -1
	ds_store_b96 v8, v[22:24]
	ds_store_b16 v8, v26 offset:12
	s_wait_dscnt 0x0
	s_barrier_signal -1
	s_barrier_wait -1
	v_cmpx_lt_i32_e64 v20, v21
	s_cbranch_execz .LBB13_32
; %bb.29:
	v_lshlrev_b32_e32 v22, 1, v17
	s_delay_alu instid0(VALU_DEP_1)
	v_lshl_add_u32 v22, v16, 1, v22
.LBB13_30:                              ; =>This Inner Loop Header: Depth=1
	v_sub_nc_u32_e32 v23, v21, v20
	s_delay_alu instid0(VALU_DEP_1) | instskip(NEXT) | instid1(VALU_DEP_1)
	v_lshrrev_b32_e32 v23, 1, v23
	v_add_nc_u32_e32 v23, v23, v20
	s_delay_alu instid0(VALU_DEP_1) | instskip(SKIP_1) | instid1(VALU_DEP_2)
	v_not_b32_e32 v24, v23
	v_lshl_add_u32 v25, v23, 1, v18
	v_lshl_add_u32 v24, v24, 1, v22
	ds_load_u16 v25, v25
	ds_load_u16 v24, v24 offset:28
	s_wait_dscnt 0x0
	v_cmp_lt_u16_e32 vcc_lo, v24, v25
	v_dual_cndmask_b32 v21, v21, v23 :: v_dual_add_nc_u32 v26, 1, v23
	s_delay_alu instid0(VALU_DEP_1) | instskip(NEXT) | instid1(VALU_DEP_1)
	v_cndmask_b32_e32 v20, v26, v20, vcc_lo
	v_cmp_ge_i32_e32 vcc_lo, v20, v21
	s_or_b32 s2, vcc_lo, s2
	s_delay_alu instid0(SALU_CYCLE_1)
	s_and_not1_b32 exec_lo, exec_lo, s2
	s_cbranch_execnz .LBB13_30
; %bb.31:
	s_or_b32 exec_lo, exec_lo, s2
.LBB13_32:
	s_delay_alu instid0(SALU_CYCLE_1) | instskip(SKIP_3) | instid1(VALU_DEP_3)
	s_or_b32 exec_lo, exec_lo, s0
	v_dual_add_nc_u32 v16, v16, v17 :: v_dual_add_nc_u32 v23, v15, v17
	v_lshl_add_u32 v21, v20, 1, v18
	v_add_nc_u32_e32 v17, v20, v19
	v_dual_sub_nc_u32 v16, v16, v20 :: v_dual_sub_nc_u32 v19, v23, v20
                                        ; implicit-def: $vgpr20
	s_delay_alu instid0(VALU_DEP_2) | instskip(NEXT) | instid1(VALU_DEP_2)
	v_cmp_le_i32_e32 vcc_lo, v15, v17
	v_lshlrev_b32_e32 v22, 1, v16
	s_delay_alu instid0(VALU_DEP_3)
	v_cmp_gt_i32_e64 s1, v14, v19
	ds_load_u16 v16, v21
	ds_load_u16 v18, v22 offset:28
	s_wait_dscnt 0x0
	v_cmp_lt_u16_e64 s0, v18, v16
	s_or_b32 s0, vcc_lo, s0
	s_delay_alu instid0(SALU_CYCLE_1) | instskip(NEXT) | instid1(SALU_CYCLE_1)
	s_and_b32 vcc_lo, s1, s0
	s_xor_b32 s0, vcc_lo, -1
	s_delay_alu instid0(SALU_CYCLE_1) | instskip(NEXT) | instid1(SALU_CYCLE_1)
	s_and_saveexec_b32 s1, s0
	s_xor_b32 s0, exec_lo, s1
; %bb.33:
	ds_load_u16 v20, v21 offset:2
                                        ; implicit-def: $vgpr22
; %bb.34:
	s_or_saveexec_b32 s0, s0
	v_mov_b32_e32 v21, v18
	s_xor_b32 exec_lo, exec_lo, s0
	s_cbranch_execz .LBB13_36
; %bb.35:
	ds_load_u16 v21, v22 offset:30
	s_wait_dscnt 0x1
	v_mov_b32_e32 v20, v16
.LBB13_36:
	s_or_b32 exec_lo, exec_lo, s0
	v_dual_add_nc_u32 v22, 1, v17 :: v_dual_add_nc_u32 v23, 1, v19
	s_wait_dscnt 0x0
	s_delay_alu instid0(VALU_DEP_2) | instskip(NEXT) | instid1(VALU_DEP_2)
	v_cmp_lt_u16_e64 s1, v21, v20
                                        ; implicit-def: $vgpr24
	v_dual_cndmask_b32 v22, v22, v17 :: v_dual_cndmask_b32 v23, v19, v23
	s_delay_alu instid0(VALU_DEP_1) | instskip(NEXT) | instid1(VALU_DEP_2)
	v_cmp_ge_i32_e64 s0, v22, v15
	v_cmp_lt_i32_e64 s2, v23, v14
	s_or_b32 s0, s0, s1
	s_delay_alu instid0(SALU_CYCLE_1) | instskip(NEXT) | instid1(SALU_CYCLE_1)
	s_and_b32 s0, s2, s0
	s_xor_b32 s1, s0, -1
	s_delay_alu instid0(SALU_CYCLE_1) | instskip(NEXT) | instid1(SALU_CYCLE_1)
	s_and_saveexec_b32 s2, s1
	s_xor_b32 s1, exec_lo, s2
; %bb.37:
	v_lshlrev_b32_e32 v24, 1, v22
	ds_load_u16 v24, v24 offset:2
; %bb.38:
	s_or_saveexec_b32 s1, s1
	v_mov_b32_e32 v25, v21
	s_xor_b32 exec_lo, exec_lo, s1
	s_cbranch_execz .LBB13_40
; %bb.39:
	s_wait_dscnt 0x0
	v_lshlrev_b32_e32 v24, 1, v23
	ds_load_u16 v25, v24 offset:2
	v_mov_b32_e32 v24, v20
.LBB13_40:
	s_or_b32 exec_lo, exec_lo, s1
	v_dual_add_nc_u32 v26, 1, v22 :: v_dual_add_nc_u32 v27, 1, v23
	s_wait_dscnt 0x0
	s_delay_alu instid0(VALU_DEP_2) | instskip(NEXT) | instid1(VALU_DEP_2)
	v_cmp_lt_u16_e64 s2, v25, v24
                                        ; implicit-def: $vgpr28
	v_dual_cndmask_b32 v26, v26, v22, s0 :: v_dual_cndmask_b32 v27, v23, v27, s0
	s_delay_alu instid0(VALU_DEP_1) | instskip(NEXT) | instid1(VALU_DEP_2)
	v_cmp_ge_i32_e64 s1, v26, v15
	v_cmp_lt_i32_e64 s3, v27, v14
	s_or_b32 s1, s1, s2
	s_delay_alu instid0(SALU_CYCLE_1) | instskip(NEXT) | instid1(SALU_CYCLE_1)
	s_and_b32 s1, s3, s1
	s_xor_b32 s2, s1, -1
	s_delay_alu instid0(SALU_CYCLE_1) | instskip(NEXT) | instid1(SALU_CYCLE_1)
	s_and_saveexec_b32 s3, s2
	s_xor_b32 s2, exec_lo, s3
; %bb.41:
	v_lshlrev_b32_e32 v28, 1, v26
	ds_load_u16 v28, v28 offset:2
; %bb.42:
	s_or_saveexec_b32 s2, s2
	v_mov_b32_e32 v29, v25
	s_xor_b32 exec_lo, exec_lo, s2
	s_cbranch_execz .LBB13_44
; %bb.43:
	s_wait_dscnt 0x0
	v_lshlrev_b32_e32 v28, 1, v27
	ds_load_u16 v29, v28 offset:2
	v_mov_b32_e32 v28, v24
.LBB13_44:
	s_or_b32 exec_lo, exec_lo, s2
	v_dual_add_nc_u32 v30, 1, v26 :: v_dual_add_nc_u32 v31, 1, v27
	s_wait_dscnt 0x0
	s_delay_alu instid0(VALU_DEP_2) | instskip(NEXT) | instid1(VALU_DEP_2)
	v_cmp_lt_u16_e64 s3, v29, v28
                                        ; implicit-def: $vgpr32
	v_dual_cndmask_b32 v30, v30, v26, s1 :: v_dual_cndmask_b32 v31, v27, v31, s1
	s_delay_alu instid0(VALU_DEP_1) | instskip(NEXT) | instid1(VALU_DEP_2)
	v_cmp_ge_i32_e64 s2, v30, v15
	v_cmp_lt_i32_e64 s4, v31, v14
	s_or_b32 s2, s2, s3
	s_delay_alu instid0(SALU_CYCLE_1) | instskip(NEXT) | instid1(SALU_CYCLE_1)
	s_and_b32 s2, s4, s2
	s_xor_b32 s3, s2, -1
	s_delay_alu instid0(SALU_CYCLE_1) | instskip(NEXT) | instid1(SALU_CYCLE_1)
	s_and_saveexec_b32 s4, s3
	s_xor_b32 s3, exec_lo, s4
; %bb.45:
	v_lshlrev_b32_e32 v32, 1, v30
	ds_load_u16 v32, v32 offset:2
; %bb.46:
	s_or_saveexec_b32 s3, s3
	v_mov_b32_e32 v33, v29
	s_xor_b32 exec_lo, exec_lo, s3
	s_cbranch_execz .LBB13_48
; %bb.47:
	s_wait_dscnt 0x0
	v_lshlrev_b32_e32 v32, 1, v31
	ds_load_u16 v33, v32 offset:2
	v_mov_b32_e32 v32, v28
.LBB13_48:
	s_or_b32 exec_lo, exec_lo, s3
	v_dual_add_nc_u32 v34, 1, v30 :: v_dual_add_nc_u32 v35, 1, v31
	s_wait_dscnt 0x0
	s_delay_alu instid0(VALU_DEP_2) | instskip(NEXT) | instid1(VALU_DEP_2)
	v_cmp_lt_u16_e64 s4, v33, v32
                                        ; implicit-def: $vgpr36
	v_dual_cndmask_b32 v34, v34, v30, s2 :: v_dual_cndmask_b32 v35, v31, v35, s2
	s_delay_alu instid0(VALU_DEP_1) | instskip(NEXT) | instid1(VALU_DEP_2)
	v_cmp_ge_i32_e64 s3, v34, v15
	v_cmp_lt_i32_e64 s5, v35, v14
	s_or_b32 s3, s3, s4
	s_delay_alu instid0(SALU_CYCLE_1) | instskip(NEXT) | instid1(SALU_CYCLE_1)
	s_and_b32 s3, s5, s3
	s_xor_b32 s4, s3, -1
	s_delay_alu instid0(SALU_CYCLE_1) | instskip(NEXT) | instid1(SALU_CYCLE_1)
	s_and_saveexec_b32 s5, s4
	s_xor_b32 s4, exec_lo, s5
; %bb.49:
	v_lshlrev_b32_e32 v36, 1, v34
	ds_load_u16 v36, v36 offset:2
; %bb.50:
	s_or_saveexec_b32 s4, s4
	v_mov_b32_e32 v37, v33
	s_xor_b32 exec_lo, exec_lo, s4
	s_cbranch_execz .LBB13_52
; %bb.51:
	s_wait_dscnt 0x0
	v_lshlrev_b32_e32 v36, 1, v35
	ds_load_u16 v37, v36 offset:2
	v_mov_b32_e32 v36, v32
.LBB13_52:
	s_or_b32 exec_lo, exec_lo, s4
	v_dual_add_nc_u32 v38, 1, v34 :: v_dual_add_nc_u32 v40, 1, v35
	s_wait_dscnt 0x0
	s_delay_alu instid0(VALU_DEP_2) | instskip(NEXT) | instid1(VALU_DEP_2)
	v_cmp_lt_u16_e64 s5, v37, v36
	v_dual_cndmask_b32 v39, v38, v34, s3 :: v_dual_cndmask_b32 v40, v35, v40, s3
                                        ; implicit-def: $vgpr38
	s_delay_alu instid0(VALU_DEP_1) | instskip(NEXT) | instid1(VALU_DEP_2)
	v_cmp_ge_i32_e64 s4, v39, v15
	v_cmp_lt_i32_e64 s6, v40, v14
	s_or_b32 s4, s4, s5
	s_delay_alu instid0(SALU_CYCLE_1) | instskip(NEXT) | instid1(SALU_CYCLE_1)
	s_and_b32 s4, s6, s4
	s_xor_b32 s5, s4, -1
	s_delay_alu instid0(SALU_CYCLE_1) | instskip(NEXT) | instid1(SALU_CYCLE_1)
	s_and_saveexec_b32 s6, s5
	s_xor_b32 s5, exec_lo, s6
; %bb.53:
	v_lshlrev_b32_e32 v38, 1, v39
	ds_load_u16 v38, v38 offset:2
; %bb.54:
	s_or_saveexec_b32 s5, s5
	v_mov_b32_e32 v41, v37
	s_xor_b32 exec_lo, exec_lo, s5
	s_cbranch_execz .LBB13_56
; %bb.55:
	s_wait_dscnt 0x0
	v_lshlrev_b32_e32 v38, 1, v40
	ds_load_u16 v41, v38 offset:2
	v_mov_b32_e32 v38, v36
.LBB13_56:
	s_or_b32 exec_lo, exec_lo, s5
	v_dual_add_nc_u32 v42, 1, v40 :: v_dual_add_nc_u32 v43, 1, v39
	v_dual_cndmask_b32 v36, v36, v37, s4 :: v_dual_cndmask_b32 v37, v39, v40, s4
	v_dual_cndmask_b32 v32, v32, v33, s3 :: v_dual_cndmask_b32 v33, v34, v35, s3
	s_delay_alu instid0(VALU_DEP_3) | instskip(SKIP_2) | instid1(VALU_DEP_3)
	v_dual_cndmask_b32 v40, v40, v42, s4 :: v_dual_cndmask_b32 v39, v43, v39, s4
	v_dual_cndmask_b32 v28, v28, v29, s2 :: v_dual_cndmask_b32 v29, v30, v31, s2
	v_dual_cndmask_b32 v25, v24, v25, s1 :: v_dual_cndmask_b32 v24, v26, v27, s1
	v_cmp_lt_i32_e64 s3, v40, v14
	v_and_b32_e32 v14, 0xf8, v0
	v_cmp_ge_i32_e64 s1, v39, v15
	s_wait_dscnt 0x0
	v_cmp_lt_u16_e64 s2, v41, v38
	v_dual_cndmask_b32 v20, v20, v21, s0 :: v_dual_cndmask_b32 v21, v22, v23, s0
	v_mul_u32_u24_e32 v22, 7, v14
	v_dual_cndmask_b32 v18, v16, v18 :: v_dual_cndmask_b32 v17, v17, v19
	s_or_b32 s0, s1, s2
	s_delay_alu instid0(SALU_CYCLE_1)
	s_and_b32 vcc_lo, s3, s0
	s_barrier_signal -1
	s_barrier_wait -1
	ds_store_b8 v2, v3
	ds_store_b8 v2, v9 offset:1
	ds_store_b8 v2, v10 offset:2
	;; [unrolled: 1-line block ×6, first 2 shown]
	v_min_u32_e32 v1, 0x6c8, v22
	v_dual_cndmask_b32 v26, v38, v41 :: v_dual_cndmask_b32 v19, v39, v40
	s_wait_dscnt 0x0
	s_barrier_signal -1
	v_min_u32_e32 v16, 0x6e4, v22
	s_barrier_wait -1
	v_dual_add_nc_u32 v14, 56, v1 :: v_dual_bitop2_b32 v23, 7, v0 bitop3:0x40
	ds_load_u8 v3, v17
	ds_load_u8 v1, v19
	;; [unrolled: 1-line block ×7, first 2 shown]
	v_min_u32_e32 v19, 0x700, v22
	v_perm_b32 v24, v36, v32, 0x5040100
	v_mul_u32_u24_e32 v17, 7, v23
	v_add_nc_u32_e32 v15, 28, v16
	v_perm_b32 v23, v28, v25, 0x5040100
	v_perm_b32 v22, v20, v18, 0x5040100
	v_lshlrev_b32_e32 v18, 1, v19
	s_mov_b32 s1, 0
	v_sub_nc_u32_e32 v21, v14, v15
	s_mov_b32 s0, exec_lo
	s_wait_dscnt 0x0
	s_barrier_signal -1
	s_barrier_wait -1
	v_dual_sub_nc_u32 v25, v17, v21 :: v_dual_sub_nc_u32 v27, v15, v19
	v_cmp_ge_i32_e32 vcc_lo, v17, v21
	ds_store_b96 v8, v[22:24]
	ds_store_b16 v8, v26 offset:12
	s_wait_dscnt 0x0
	v_dual_cndmask_b32 v20, 0, v25 :: v_dual_min_i32 v21, v17, v27
	s_barrier_signal -1
	s_barrier_wait -1
	s_delay_alu instid0(VALU_DEP_1)
	v_cmpx_lt_i32_e64 v20, v21
	s_cbranch_execz .LBB13_60
; %bb.57:
	v_lshlrev_b32_e32 v22, 1, v17
	s_delay_alu instid0(VALU_DEP_1)
	v_lshl_add_u32 v22, v16, 1, v22
.LBB13_58:                              ; =>This Inner Loop Header: Depth=1
	v_sub_nc_u32_e32 v23, v21, v20
	s_delay_alu instid0(VALU_DEP_1) | instskip(NEXT) | instid1(VALU_DEP_1)
	v_lshrrev_b32_e32 v23, 1, v23
	v_add_nc_u32_e32 v23, v23, v20
	s_delay_alu instid0(VALU_DEP_1) | instskip(SKIP_1) | instid1(VALU_DEP_2)
	v_not_b32_e32 v24, v23
	v_lshl_add_u32 v25, v23, 1, v18
	v_lshl_add_u32 v24, v24, 1, v22
	ds_load_u16 v25, v25
	ds_load_u16 v24, v24 offset:56
	s_wait_dscnt 0x0
	v_cmp_lt_u16_e32 vcc_lo, v24, v25
	v_dual_cndmask_b32 v21, v21, v23 :: v_dual_add_nc_u32 v26, 1, v23
	s_delay_alu instid0(VALU_DEP_1) | instskip(NEXT) | instid1(VALU_DEP_1)
	v_cndmask_b32_e32 v20, v26, v20, vcc_lo
	v_cmp_ge_i32_e32 vcc_lo, v20, v21
	s_or_b32 s1, vcc_lo, s1
	s_delay_alu instid0(SALU_CYCLE_1)
	s_and_not1_b32 exec_lo, exec_lo, s1
	s_cbranch_execnz .LBB13_58
; %bb.59:
	s_or_b32 exec_lo, exec_lo, s1
.LBB13_60:
	s_delay_alu instid0(SALU_CYCLE_1) | instskip(SKIP_3) | instid1(VALU_DEP_3)
	s_or_b32 exec_lo, exec_lo, s0
	v_dual_add_nc_u32 v16, v16, v17 :: v_dual_add_nc_u32 v23, v15, v17
	v_lshl_add_u32 v21, v20, 1, v18
	v_add_nc_u32_e32 v17, v20, v19
	v_dual_sub_nc_u32 v16, v16, v20 :: v_dual_sub_nc_u32 v19, v23, v20
                                        ; implicit-def: $vgpr20
	s_delay_alu instid0(VALU_DEP_2) | instskip(NEXT) | instid1(VALU_DEP_2)
	v_cmp_le_i32_e32 vcc_lo, v15, v17
	v_lshlrev_b32_e32 v22, 1, v16
	s_delay_alu instid0(VALU_DEP_3)
	v_cmp_gt_i32_e64 s1, v14, v19
	ds_load_u16 v16, v21
	ds_load_u16 v18, v22 offset:56
	s_wait_dscnt 0x0
	v_cmp_lt_u16_e64 s0, v18, v16
	s_or_b32 s0, vcc_lo, s0
	s_delay_alu instid0(SALU_CYCLE_1) | instskip(NEXT) | instid1(SALU_CYCLE_1)
	s_and_b32 vcc_lo, s1, s0
	s_xor_b32 s0, vcc_lo, -1
	s_delay_alu instid0(SALU_CYCLE_1) | instskip(NEXT) | instid1(SALU_CYCLE_1)
	s_and_saveexec_b32 s1, s0
	s_xor_b32 s0, exec_lo, s1
; %bb.61:
	ds_load_u16 v20, v21 offset:2
                                        ; implicit-def: $vgpr22
; %bb.62:
	s_or_saveexec_b32 s0, s0
	v_mov_b32_e32 v21, v18
	s_xor_b32 exec_lo, exec_lo, s0
	s_cbranch_execz .LBB13_64
; %bb.63:
	ds_load_u16 v21, v22 offset:58
	s_wait_dscnt 0x1
	v_mov_b32_e32 v20, v16
.LBB13_64:
	s_or_b32 exec_lo, exec_lo, s0
	v_dual_add_nc_u32 v22, 1, v17 :: v_dual_add_nc_u32 v23, 1, v19
	s_wait_dscnt 0x0
	s_delay_alu instid0(VALU_DEP_2) | instskip(NEXT) | instid1(VALU_DEP_2)
	v_cmp_lt_u16_e64 s1, v21, v20
                                        ; implicit-def: $vgpr24
	v_dual_cndmask_b32 v22, v22, v17 :: v_dual_cndmask_b32 v23, v19, v23
	s_delay_alu instid0(VALU_DEP_1) | instskip(NEXT) | instid1(VALU_DEP_2)
	v_cmp_ge_i32_e64 s0, v22, v15
	v_cmp_lt_i32_e64 s2, v23, v14
	s_or_b32 s0, s0, s1
	s_delay_alu instid0(SALU_CYCLE_1) | instskip(NEXT) | instid1(SALU_CYCLE_1)
	s_and_b32 s0, s2, s0
	s_xor_b32 s1, s0, -1
	s_delay_alu instid0(SALU_CYCLE_1) | instskip(NEXT) | instid1(SALU_CYCLE_1)
	s_and_saveexec_b32 s2, s1
	s_xor_b32 s1, exec_lo, s2
; %bb.65:
	v_lshlrev_b32_e32 v24, 1, v22
	ds_load_u16 v24, v24 offset:2
; %bb.66:
	s_or_saveexec_b32 s1, s1
	v_mov_b32_e32 v25, v21
	s_xor_b32 exec_lo, exec_lo, s1
	s_cbranch_execz .LBB13_68
; %bb.67:
	s_wait_dscnt 0x0
	v_lshlrev_b32_e32 v24, 1, v23
	ds_load_u16 v25, v24 offset:2
	v_mov_b32_e32 v24, v20
.LBB13_68:
	s_or_b32 exec_lo, exec_lo, s1
	v_dual_add_nc_u32 v26, 1, v22 :: v_dual_add_nc_u32 v27, 1, v23
	s_wait_dscnt 0x0
	s_delay_alu instid0(VALU_DEP_2) | instskip(NEXT) | instid1(VALU_DEP_2)
	v_cmp_lt_u16_e64 s2, v25, v24
                                        ; implicit-def: $vgpr28
	v_dual_cndmask_b32 v26, v26, v22, s0 :: v_dual_cndmask_b32 v27, v23, v27, s0
	s_delay_alu instid0(VALU_DEP_1) | instskip(NEXT) | instid1(VALU_DEP_2)
	v_cmp_ge_i32_e64 s1, v26, v15
	v_cmp_lt_i32_e64 s3, v27, v14
	s_or_b32 s1, s1, s2
	s_delay_alu instid0(SALU_CYCLE_1) | instskip(NEXT) | instid1(SALU_CYCLE_1)
	s_and_b32 s1, s3, s1
	s_xor_b32 s2, s1, -1
	s_delay_alu instid0(SALU_CYCLE_1) | instskip(NEXT) | instid1(SALU_CYCLE_1)
	s_and_saveexec_b32 s3, s2
	s_xor_b32 s2, exec_lo, s3
; %bb.69:
	v_lshlrev_b32_e32 v28, 1, v26
	ds_load_u16 v28, v28 offset:2
; %bb.70:
	s_or_saveexec_b32 s2, s2
	v_mov_b32_e32 v29, v25
	s_xor_b32 exec_lo, exec_lo, s2
	s_cbranch_execz .LBB13_72
; %bb.71:
	s_wait_dscnt 0x0
	v_lshlrev_b32_e32 v28, 1, v27
	ds_load_u16 v29, v28 offset:2
	v_mov_b32_e32 v28, v24
.LBB13_72:
	s_or_b32 exec_lo, exec_lo, s2
	v_dual_add_nc_u32 v30, 1, v26 :: v_dual_add_nc_u32 v31, 1, v27
	s_wait_dscnt 0x0
	s_delay_alu instid0(VALU_DEP_2) | instskip(NEXT) | instid1(VALU_DEP_2)
	v_cmp_lt_u16_e64 s3, v29, v28
                                        ; implicit-def: $vgpr32
	v_dual_cndmask_b32 v30, v30, v26, s1 :: v_dual_cndmask_b32 v31, v27, v31, s1
	s_delay_alu instid0(VALU_DEP_1) | instskip(NEXT) | instid1(VALU_DEP_2)
	v_cmp_ge_i32_e64 s2, v30, v15
	v_cmp_lt_i32_e64 s4, v31, v14
	s_or_b32 s2, s2, s3
	s_delay_alu instid0(SALU_CYCLE_1) | instskip(NEXT) | instid1(SALU_CYCLE_1)
	s_and_b32 s2, s4, s2
	s_xor_b32 s3, s2, -1
	s_delay_alu instid0(SALU_CYCLE_1) | instskip(NEXT) | instid1(SALU_CYCLE_1)
	s_and_saveexec_b32 s4, s3
	s_xor_b32 s3, exec_lo, s4
; %bb.73:
	v_lshlrev_b32_e32 v32, 1, v30
	ds_load_u16 v32, v32 offset:2
; %bb.74:
	s_or_saveexec_b32 s3, s3
	v_mov_b32_e32 v33, v29
	s_xor_b32 exec_lo, exec_lo, s3
	s_cbranch_execz .LBB13_76
; %bb.75:
	s_wait_dscnt 0x0
	v_lshlrev_b32_e32 v32, 1, v31
	ds_load_u16 v33, v32 offset:2
	v_mov_b32_e32 v32, v28
.LBB13_76:
	s_or_b32 exec_lo, exec_lo, s3
	v_dual_add_nc_u32 v34, 1, v30 :: v_dual_add_nc_u32 v35, 1, v31
	s_wait_dscnt 0x0
	s_delay_alu instid0(VALU_DEP_2) | instskip(NEXT) | instid1(VALU_DEP_2)
	v_cmp_lt_u16_e64 s4, v33, v32
                                        ; implicit-def: $vgpr36
	v_dual_cndmask_b32 v34, v34, v30, s2 :: v_dual_cndmask_b32 v35, v31, v35, s2
	s_delay_alu instid0(VALU_DEP_1) | instskip(NEXT) | instid1(VALU_DEP_2)
	v_cmp_ge_i32_e64 s3, v34, v15
	v_cmp_lt_i32_e64 s5, v35, v14
	s_or_b32 s3, s3, s4
	s_delay_alu instid0(SALU_CYCLE_1) | instskip(NEXT) | instid1(SALU_CYCLE_1)
	s_and_b32 s3, s5, s3
	s_xor_b32 s4, s3, -1
	s_delay_alu instid0(SALU_CYCLE_1) | instskip(NEXT) | instid1(SALU_CYCLE_1)
	s_and_saveexec_b32 s5, s4
	s_xor_b32 s4, exec_lo, s5
; %bb.77:
	v_lshlrev_b32_e32 v36, 1, v34
	ds_load_u16 v36, v36 offset:2
; %bb.78:
	s_or_saveexec_b32 s4, s4
	v_mov_b32_e32 v37, v33
	s_xor_b32 exec_lo, exec_lo, s4
	s_cbranch_execz .LBB13_80
; %bb.79:
	s_wait_dscnt 0x0
	v_lshlrev_b32_e32 v36, 1, v35
	ds_load_u16 v37, v36 offset:2
	v_mov_b32_e32 v36, v32
.LBB13_80:
	s_or_b32 exec_lo, exec_lo, s4
	v_dual_add_nc_u32 v38, 1, v34 :: v_dual_add_nc_u32 v40, 1, v35
	s_wait_dscnt 0x0
	s_delay_alu instid0(VALU_DEP_2) | instskip(NEXT) | instid1(VALU_DEP_2)
	v_cmp_lt_u16_e64 s5, v37, v36
	v_dual_cndmask_b32 v39, v38, v34, s3 :: v_dual_cndmask_b32 v40, v35, v40, s3
                                        ; implicit-def: $vgpr38
	s_delay_alu instid0(VALU_DEP_1) | instskip(NEXT) | instid1(VALU_DEP_2)
	v_cmp_ge_i32_e64 s4, v39, v15
	v_cmp_lt_i32_e64 s6, v40, v14
	s_or_b32 s4, s4, s5
	s_delay_alu instid0(SALU_CYCLE_1) | instskip(NEXT) | instid1(SALU_CYCLE_1)
	s_and_b32 s4, s6, s4
	s_xor_b32 s5, s4, -1
	s_delay_alu instid0(SALU_CYCLE_1) | instskip(NEXT) | instid1(SALU_CYCLE_1)
	s_and_saveexec_b32 s6, s5
	s_xor_b32 s5, exec_lo, s6
; %bb.81:
	v_lshlrev_b32_e32 v38, 1, v39
	ds_load_u16 v38, v38 offset:2
; %bb.82:
	s_or_saveexec_b32 s5, s5
	v_mov_b32_e32 v41, v37
	s_xor_b32 exec_lo, exec_lo, s5
	s_cbranch_execz .LBB13_84
; %bb.83:
	s_wait_dscnt 0x0
	v_lshlrev_b32_e32 v38, 1, v40
	ds_load_u16 v41, v38 offset:2
	v_mov_b32_e32 v38, v36
.LBB13_84:
	s_or_b32 exec_lo, exec_lo, s5
	v_dual_add_nc_u32 v42, 1, v40 :: v_dual_add_nc_u32 v43, 1, v39
	v_dual_cndmask_b32 v36, v36, v37, s4 :: v_dual_cndmask_b32 v37, v39, v40, s4
	v_dual_cndmask_b32 v32, v32, v33, s3 :: v_dual_cndmask_b32 v33, v34, v35, s3
	s_delay_alu instid0(VALU_DEP_3) | instskip(SKIP_2) | instid1(VALU_DEP_3)
	v_dual_cndmask_b32 v40, v40, v42, s4 :: v_dual_cndmask_b32 v39, v43, v39, s4
	v_dual_cndmask_b32 v28, v28, v29, s2 :: v_dual_cndmask_b32 v29, v30, v31, s2
	;; [unrolled: 1-line block ×3, first 2 shown]
	v_cmp_lt_i32_e64 s3, v40, v14
	v_and_b32_e32 v14, 0xf0, v0
	v_cmp_ge_i32_e64 s1, v39, v15
	s_wait_dscnt 0x0
	v_cmp_lt_u16_e64 s2, v41, v38
	v_dual_cndmask_b32 v20, v20, v21, s0 :: v_dual_cndmask_b32 v21, v22, v23, s0
	v_mul_u32_u24_e32 v22, 7, v14
	v_dual_cndmask_b32 v18, v16, v18 :: v_dual_cndmask_b32 v17, v17, v19
	s_or_b32 s0, s1, s2
	s_delay_alu instid0(SALU_CYCLE_1)
	s_and_b32 vcc_lo, s3, s0
	s_barrier_signal -1
	s_barrier_wait -1
	ds_store_b8 v2, v3
	ds_store_b8 v2, v9 offset:1
	ds_store_b8 v2, v10 offset:2
	;; [unrolled: 1-line block ×6, first 2 shown]
	v_min_u32_e32 v1, 0x690, v22
	v_dual_cndmask_b32 v26, v38, v41 :: v_dual_cndmask_b32 v19, v39, v40
	s_wait_dscnt 0x0
	s_barrier_signal -1
	v_min_u32_e32 v16, 0x6c8, v22
	s_barrier_wait -1
	v_add_nc_u32_e32 v14, 0x70, v1
	ds_load_u8 v3, v17
	ds_load_u8 v1, v19
	;; [unrolled: 1-line block ×7, first 2 shown]
	v_add_nc_u32_e32 v15, 56, v16
	v_and_b32_e32 v23, 15, v0
	v_min_u32_e32 v19, 0x700, v22
	v_perm_b32 v24, v36, v32, 0x5040100
	v_perm_b32 v22, v20, v18, 0x5040100
	v_sub_nc_u32_e32 v21, v14, v15
	v_mul_u32_u24_e32 v17, 7, v23
	v_perm_b32 v23, v28, v25, 0x5040100
	v_lshlrev_b32_e32 v18, 1, v19
	s_mov_b32 s1, 0
	s_mov_b32 s0, exec_lo
	v_sub_nc_u32_e32 v25, v17, v21
	v_cmp_ge_i32_e32 vcc_lo, v17, v21
	v_sub_nc_u32_e32 v27, v15, v19
	s_wait_dscnt 0x0
	s_barrier_signal -1
	s_barrier_wait -1
	s_delay_alu instid0(VALU_DEP_1)
	v_dual_cndmask_b32 v20, 0, v25 :: v_dual_min_i32 v21, v17, v27
	ds_store_b96 v8, v[22:24]
	ds_store_b16 v8, v26 offset:12
	s_wait_dscnt 0x0
	s_barrier_signal -1
	s_barrier_wait -1
	v_cmpx_lt_i32_e64 v20, v21
	s_cbranch_execz .LBB13_88
; %bb.85:
	v_lshlrev_b32_e32 v22, 1, v17
	s_delay_alu instid0(VALU_DEP_1)
	v_lshl_add_u32 v22, v16, 1, v22
.LBB13_86:                              ; =>This Inner Loop Header: Depth=1
	v_sub_nc_u32_e32 v23, v21, v20
	s_delay_alu instid0(VALU_DEP_1) | instskip(NEXT) | instid1(VALU_DEP_1)
	v_lshrrev_b32_e32 v23, 1, v23
	v_add_nc_u32_e32 v23, v23, v20
	s_delay_alu instid0(VALU_DEP_1) | instskip(SKIP_1) | instid1(VALU_DEP_2)
	v_not_b32_e32 v24, v23
	v_lshl_add_u32 v25, v23, 1, v18
	v_lshl_add_u32 v24, v24, 1, v22
	ds_load_u16 v25, v25
	ds_load_u16 v24, v24 offset:112
	s_wait_dscnt 0x0
	v_cmp_lt_u16_e32 vcc_lo, v24, v25
	v_dual_cndmask_b32 v21, v21, v23 :: v_dual_add_nc_u32 v26, 1, v23
	s_delay_alu instid0(VALU_DEP_1) | instskip(NEXT) | instid1(VALU_DEP_1)
	v_cndmask_b32_e32 v20, v26, v20, vcc_lo
	v_cmp_ge_i32_e32 vcc_lo, v20, v21
	s_or_b32 s1, vcc_lo, s1
	s_delay_alu instid0(SALU_CYCLE_1)
	s_and_not1_b32 exec_lo, exec_lo, s1
	s_cbranch_execnz .LBB13_86
; %bb.87:
	s_or_b32 exec_lo, exec_lo, s1
.LBB13_88:
	s_delay_alu instid0(SALU_CYCLE_1) | instskip(SKIP_3) | instid1(VALU_DEP_3)
	s_or_b32 exec_lo, exec_lo, s0
	v_dual_add_nc_u32 v16, v16, v17 :: v_dual_add_nc_u32 v23, v15, v17
	v_lshl_add_u32 v21, v20, 1, v18
	v_add_nc_u32_e32 v17, v20, v19
	v_dual_sub_nc_u32 v16, v16, v20 :: v_dual_sub_nc_u32 v19, v23, v20
                                        ; implicit-def: $vgpr20
	s_delay_alu instid0(VALU_DEP_2) | instskip(NEXT) | instid1(VALU_DEP_2)
	v_cmp_le_i32_e32 vcc_lo, v15, v17
	v_lshlrev_b32_e32 v22, 1, v16
	s_delay_alu instid0(VALU_DEP_3)
	v_cmp_gt_i32_e64 s1, v14, v19
	ds_load_u16 v16, v21
	ds_load_u16 v18, v22 offset:112
	s_wait_dscnt 0x0
	v_cmp_lt_u16_e64 s0, v18, v16
	s_or_b32 s0, vcc_lo, s0
	s_delay_alu instid0(SALU_CYCLE_1) | instskip(NEXT) | instid1(SALU_CYCLE_1)
	s_and_b32 vcc_lo, s1, s0
	s_xor_b32 s0, vcc_lo, -1
	s_delay_alu instid0(SALU_CYCLE_1) | instskip(NEXT) | instid1(SALU_CYCLE_1)
	s_and_saveexec_b32 s1, s0
	s_xor_b32 s0, exec_lo, s1
; %bb.89:
	ds_load_u16 v20, v21 offset:2
                                        ; implicit-def: $vgpr22
; %bb.90:
	s_or_saveexec_b32 s0, s0
	v_mov_b32_e32 v21, v18
	s_xor_b32 exec_lo, exec_lo, s0
	s_cbranch_execz .LBB13_92
; %bb.91:
	ds_load_u16 v21, v22 offset:114
	s_wait_dscnt 0x1
	v_mov_b32_e32 v20, v16
.LBB13_92:
	s_or_b32 exec_lo, exec_lo, s0
	v_dual_add_nc_u32 v22, 1, v17 :: v_dual_add_nc_u32 v23, 1, v19
	s_wait_dscnt 0x0
	s_delay_alu instid0(VALU_DEP_2) | instskip(NEXT) | instid1(VALU_DEP_2)
	v_cmp_lt_u16_e64 s1, v21, v20
                                        ; implicit-def: $vgpr24
	v_dual_cndmask_b32 v22, v22, v17 :: v_dual_cndmask_b32 v23, v19, v23
	s_delay_alu instid0(VALU_DEP_1) | instskip(NEXT) | instid1(VALU_DEP_2)
	v_cmp_ge_i32_e64 s0, v22, v15
	v_cmp_lt_i32_e64 s2, v23, v14
	s_or_b32 s0, s0, s1
	s_delay_alu instid0(SALU_CYCLE_1) | instskip(NEXT) | instid1(SALU_CYCLE_1)
	s_and_b32 s0, s2, s0
	s_xor_b32 s1, s0, -1
	s_delay_alu instid0(SALU_CYCLE_1) | instskip(NEXT) | instid1(SALU_CYCLE_1)
	s_and_saveexec_b32 s2, s1
	s_xor_b32 s1, exec_lo, s2
; %bb.93:
	v_lshlrev_b32_e32 v24, 1, v22
	ds_load_u16 v24, v24 offset:2
; %bb.94:
	s_or_saveexec_b32 s1, s1
	v_mov_b32_e32 v25, v21
	s_xor_b32 exec_lo, exec_lo, s1
	s_cbranch_execz .LBB13_96
; %bb.95:
	s_wait_dscnt 0x0
	v_lshlrev_b32_e32 v24, 1, v23
	ds_load_u16 v25, v24 offset:2
	v_mov_b32_e32 v24, v20
.LBB13_96:
	s_or_b32 exec_lo, exec_lo, s1
	v_dual_add_nc_u32 v26, 1, v22 :: v_dual_add_nc_u32 v27, 1, v23
	s_wait_dscnt 0x0
	s_delay_alu instid0(VALU_DEP_2) | instskip(NEXT) | instid1(VALU_DEP_2)
	v_cmp_lt_u16_e64 s2, v25, v24
                                        ; implicit-def: $vgpr28
	v_dual_cndmask_b32 v26, v26, v22, s0 :: v_dual_cndmask_b32 v27, v23, v27, s0
	s_delay_alu instid0(VALU_DEP_1) | instskip(NEXT) | instid1(VALU_DEP_2)
	v_cmp_ge_i32_e64 s1, v26, v15
	v_cmp_lt_i32_e64 s3, v27, v14
	s_or_b32 s1, s1, s2
	s_delay_alu instid0(SALU_CYCLE_1) | instskip(NEXT) | instid1(SALU_CYCLE_1)
	s_and_b32 s1, s3, s1
	s_xor_b32 s2, s1, -1
	s_delay_alu instid0(SALU_CYCLE_1) | instskip(NEXT) | instid1(SALU_CYCLE_1)
	s_and_saveexec_b32 s3, s2
	s_xor_b32 s2, exec_lo, s3
; %bb.97:
	v_lshlrev_b32_e32 v28, 1, v26
	ds_load_u16 v28, v28 offset:2
; %bb.98:
	s_or_saveexec_b32 s2, s2
	v_mov_b32_e32 v29, v25
	s_xor_b32 exec_lo, exec_lo, s2
	s_cbranch_execz .LBB13_100
; %bb.99:
	s_wait_dscnt 0x0
	v_lshlrev_b32_e32 v28, 1, v27
	ds_load_u16 v29, v28 offset:2
	v_mov_b32_e32 v28, v24
.LBB13_100:
	s_or_b32 exec_lo, exec_lo, s2
	v_dual_add_nc_u32 v30, 1, v26 :: v_dual_add_nc_u32 v31, 1, v27
	s_wait_dscnt 0x0
	s_delay_alu instid0(VALU_DEP_2) | instskip(NEXT) | instid1(VALU_DEP_2)
	v_cmp_lt_u16_e64 s3, v29, v28
                                        ; implicit-def: $vgpr32
	v_dual_cndmask_b32 v30, v30, v26, s1 :: v_dual_cndmask_b32 v31, v27, v31, s1
	s_delay_alu instid0(VALU_DEP_1) | instskip(NEXT) | instid1(VALU_DEP_2)
	v_cmp_ge_i32_e64 s2, v30, v15
	v_cmp_lt_i32_e64 s4, v31, v14
	s_or_b32 s2, s2, s3
	s_delay_alu instid0(SALU_CYCLE_1) | instskip(NEXT) | instid1(SALU_CYCLE_1)
	s_and_b32 s2, s4, s2
	s_xor_b32 s3, s2, -1
	s_delay_alu instid0(SALU_CYCLE_1) | instskip(NEXT) | instid1(SALU_CYCLE_1)
	s_and_saveexec_b32 s4, s3
	s_xor_b32 s3, exec_lo, s4
; %bb.101:
	v_lshlrev_b32_e32 v32, 1, v30
	ds_load_u16 v32, v32 offset:2
; %bb.102:
	s_or_saveexec_b32 s3, s3
	v_mov_b32_e32 v33, v29
	s_xor_b32 exec_lo, exec_lo, s3
	s_cbranch_execz .LBB13_104
; %bb.103:
	s_wait_dscnt 0x0
	v_lshlrev_b32_e32 v32, 1, v31
	ds_load_u16 v33, v32 offset:2
	v_mov_b32_e32 v32, v28
.LBB13_104:
	s_or_b32 exec_lo, exec_lo, s3
	v_dual_add_nc_u32 v34, 1, v30 :: v_dual_add_nc_u32 v35, 1, v31
	s_wait_dscnt 0x0
	s_delay_alu instid0(VALU_DEP_2) | instskip(NEXT) | instid1(VALU_DEP_2)
	v_cmp_lt_u16_e64 s4, v33, v32
                                        ; implicit-def: $vgpr36
	v_dual_cndmask_b32 v34, v34, v30, s2 :: v_dual_cndmask_b32 v35, v31, v35, s2
	s_delay_alu instid0(VALU_DEP_1) | instskip(NEXT) | instid1(VALU_DEP_2)
	v_cmp_ge_i32_e64 s3, v34, v15
	v_cmp_lt_i32_e64 s5, v35, v14
	s_or_b32 s3, s3, s4
	s_delay_alu instid0(SALU_CYCLE_1) | instskip(NEXT) | instid1(SALU_CYCLE_1)
	s_and_b32 s3, s5, s3
	s_xor_b32 s4, s3, -1
	s_delay_alu instid0(SALU_CYCLE_1) | instskip(NEXT) | instid1(SALU_CYCLE_1)
	s_and_saveexec_b32 s5, s4
	s_xor_b32 s4, exec_lo, s5
; %bb.105:
	v_lshlrev_b32_e32 v36, 1, v34
	ds_load_u16 v36, v36 offset:2
; %bb.106:
	s_or_saveexec_b32 s4, s4
	v_mov_b32_e32 v37, v33
	s_xor_b32 exec_lo, exec_lo, s4
	s_cbranch_execz .LBB13_108
; %bb.107:
	s_wait_dscnt 0x0
	v_lshlrev_b32_e32 v36, 1, v35
	ds_load_u16 v37, v36 offset:2
	v_mov_b32_e32 v36, v32
.LBB13_108:
	s_or_b32 exec_lo, exec_lo, s4
	v_dual_add_nc_u32 v38, 1, v34 :: v_dual_add_nc_u32 v40, 1, v35
	s_wait_dscnt 0x0
	s_delay_alu instid0(VALU_DEP_2) | instskip(NEXT) | instid1(VALU_DEP_2)
	v_cmp_lt_u16_e64 s5, v37, v36
	v_dual_cndmask_b32 v39, v38, v34, s3 :: v_dual_cndmask_b32 v40, v35, v40, s3
                                        ; implicit-def: $vgpr38
	s_delay_alu instid0(VALU_DEP_1) | instskip(NEXT) | instid1(VALU_DEP_2)
	v_cmp_ge_i32_e64 s4, v39, v15
	v_cmp_lt_i32_e64 s6, v40, v14
	s_or_b32 s4, s4, s5
	s_delay_alu instid0(SALU_CYCLE_1) | instskip(NEXT) | instid1(SALU_CYCLE_1)
	s_and_b32 s4, s6, s4
	s_xor_b32 s5, s4, -1
	s_delay_alu instid0(SALU_CYCLE_1) | instskip(NEXT) | instid1(SALU_CYCLE_1)
	s_and_saveexec_b32 s6, s5
	s_xor_b32 s5, exec_lo, s6
; %bb.109:
	v_lshlrev_b32_e32 v38, 1, v39
	ds_load_u16 v38, v38 offset:2
; %bb.110:
	s_or_saveexec_b32 s5, s5
	v_mov_b32_e32 v41, v37
	s_xor_b32 exec_lo, exec_lo, s5
	s_cbranch_execz .LBB13_112
; %bb.111:
	s_wait_dscnt 0x0
	v_lshlrev_b32_e32 v38, 1, v40
	ds_load_u16 v41, v38 offset:2
	v_mov_b32_e32 v38, v36
.LBB13_112:
	s_or_b32 exec_lo, exec_lo, s5
	v_dual_add_nc_u32 v42, 1, v40 :: v_dual_add_nc_u32 v43, 1, v39
	v_dual_cndmask_b32 v36, v36, v37, s4 :: v_dual_cndmask_b32 v37, v39, v40, s4
	v_dual_cndmask_b32 v32, v32, v33, s3 :: v_dual_cndmask_b32 v33, v34, v35, s3
	s_delay_alu instid0(VALU_DEP_3) | instskip(SKIP_2) | instid1(VALU_DEP_3)
	v_dual_cndmask_b32 v40, v40, v42, s4 :: v_dual_cndmask_b32 v39, v43, v39, s4
	v_dual_cndmask_b32 v28, v28, v29, s2 :: v_dual_cndmask_b32 v29, v30, v31, s2
	;; [unrolled: 1-line block ×3, first 2 shown]
	v_cmp_lt_i32_e64 s3, v40, v14
	v_and_b32_e32 v14, 0xe0, v0
	v_cmp_ge_i32_e64 s1, v39, v15
	s_wait_dscnt 0x0
	v_cmp_lt_u16_e64 s2, v41, v38
	v_dual_cndmask_b32 v20, v20, v21, s0 :: v_dual_cndmask_b32 v21, v22, v23, s0
	v_mul_u32_u24_e32 v22, 7, v14
	v_dual_cndmask_b32 v18, v16, v18 :: v_dual_cndmask_b32 v17, v17, v19
	s_or_b32 s0, s1, s2
	s_delay_alu instid0(SALU_CYCLE_1)
	s_and_b32 vcc_lo, s3, s0
	s_barrier_signal -1
	s_barrier_wait -1
	ds_store_b8 v2, v3
	ds_store_b8 v2, v9 offset:1
	ds_store_b8 v2, v10 offset:2
	;; [unrolled: 1-line block ×6, first 2 shown]
	v_min_u32_e32 v16, 0x690, v22
	v_min_u32_e32 v1, 0x620, v22
	v_dual_cndmask_b32 v26, v38, v41 :: v_dual_cndmask_b32 v19, v39, v40
	s_wait_dscnt 0x0
	s_barrier_signal -1
	s_barrier_wait -1
	v_add_nc_u32_e32 v15, 0x70, v16
	v_add_nc_u32_e32 v14, 0xe0, v1
	v_and_b32_e32 v23, 31, v0
	ds_load_u8 v3, v17
	ds_load_u8 v1, v19
	;; [unrolled: 1-line block ×7, first 2 shown]
	v_min_u32_e32 v19, 0x700, v22
	v_perm_b32 v22, v20, v18, 0x5040100
	v_sub_nc_u32_e32 v21, v14, v15
	v_mul_u32_u24_e32 v17, 7, v23
	v_perm_b32 v23, v28, v25, 0x5040100
	v_perm_b32 v24, v36, v32, 0x5040100
	v_lshlrev_b32_e32 v18, 1, v19
	s_mov_b32 s1, 0
	v_sub_nc_u32_e32 v25, v17, v21
	v_cmp_ge_i32_e32 vcc_lo, v17, v21
	s_mov_b32 s0, exec_lo
	s_wait_dscnt 0x0
	s_barrier_signal -1
	s_barrier_wait -1
	v_dual_cndmask_b32 v20, 0, v25 :: v_dual_sub_nc_u32 v27, v15, v19
	ds_store_b96 v8, v[22:24]
	ds_store_b16 v8, v26 offset:12
	s_wait_dscnt 0x0
	s_barrier_signal -1
	v_min_i32_e32 v21, v17, v27
	s_barrier_wait -1
	s_delay_alu instid0(VALU_DEP_1)
	v_cmpx_lt_i32_e64 v20, v21
	s_cbranch_execz .LBB13_116
; %bb.113:
	v_lshlrev_b32_e32 v22, 1, v17
	s_delay_alu instid0(VALU_DEP_1)
	v_lshl_add_u32 v22, v16, 1, v22
.LBB13_114:                             ; =>This Inner Loop Header: Depth=1
	v_sub_nc_u32_e32 v23, v21, v20
	s_delay_alu instid0(VALU_DEP_1) | instskip(NEXT) | instid1(VALU_DEP_1)
	v_lshrrev_b32_e32 v23, 1, v23
	v_add_nc_u32_e32 v23, v23, v20
	s_delay_alu instid0(VALU_DEP_1) | instskip(SKIP_1) | instid1(VALU_DEP_2)
	v_not_b32_e32 v24, v23
	v_lshl_add_u32 v25, v23, 1, v18
	v_lshl_add_u32 v24, v24, 1, v22
	ds_load_u16 v25, v25
	ds_load_u16 v24, v24 offset:224
	s_wait_dscnt 0x0
	v_cmp_lt_u16_e32 vcc_lo, v24, v25
	v_dual_cndmask_b32 v21, v21, v23 :: v_dual_add_nc_u32 v26, 1, v23
	s_delay_alu instid0(VALU_DEP_1) | instskip(NEXT) | instid1(VALU_DEP_1)
	v_cndmask_b32_e32 v20, v26, v20, vcc_lo
	v_cmp_ge_i32_e32 vcc_lo, v20, v21
	s_or_b32 s1, vcc_lo, s1
	s_delay_alu instid0(SALU_CYCLE_1)
	s_and_not1_b32 exec_lo, exec_lo, s1
	s_cbranch_execnz .LBB13_114
; %bb.115:
	s_or_b32 exec_lo, exec_lo, s1
.LBB13_116:
	s_delay_alu instid0(SALU_CYCLE_1) | instskip(SKIP_3) | instid1(VALU_DEP_3)
	s_or_b32 exec_lo, exec_lo, s0
	v_dual_add_nc_u32 v16, v16, v17 :: v_dual_add_nc_u32 v23, v15, v17
	v_lshl_add_u32 v21, v20, 1, v18
	v_add_nc_u32_e32 v17, v20, v19
	v_dual_sub_nc_u32 v16, v16, v20 :: v_dual_sub_nc_u32 v19, v23, v20
                                        ; implicit-def: $vgpr20
	s_delay_alu instid0(VALU_DEP_2) | instskip(NEXT) | instid1(VALU_DEP_2)
	v_cmp_le_i32_e32 vcc_lo, v15, v17
	v_lshlrev_b32_e32 v22, 1, v16
	s_delay_alu instid0(VALU_DEP_3)
	v_cmp_gt_i32_e64 s1, v14, v19
	ds_load_u16 v16, v21
	ds_load_u16 v18, v22 offset:224
	s_wait_dscnt 0x0
	v_cmp_lt_u16_e64 s0, v18, v16
	s_or_b32 s0, vcc_lo, s0
	s_delay_alu instid0(SALU_CYCLE_1) | instskip(NEXT) | instid1(SALU_CYCLE_1)
	s_and_b32 vcc_lo, s1, s0
	s_xor_b32 s0, vcc_lo, -1
	s_delay_alu instid0(SALU_CYCLE_1) | instskip(NEXT) | instid1(SALU_CYCLE_1)
	s_and_saveexec_b32 s1, s0
	s_xor_b32 s0, exec_lo, s1
; %bb.117:
	ds_load_u16 v20, v21 offset:2
                                        ; implicit-def: $vgpr22
; %bb.118:
	s_or_saveexec_b32 s0, s0
	v_mov_b32_e32 v21, v18
	s_xor_b32 exec_lo, exec_lo, s0
	s_cbranch_execz .LBB13_120
; %bb.119:
	ds_load_u16 v21, v22 offset:226
	s_wait_dscnt 0x1
	v_mov_b32_e32 v20, v16
.LBB13_120:
	s_or_b32 exec_lo, exec_lo, s0
	v_dual_add_nc_u32 v22, 1, v17 :: v_dual_add_nc_u32 v23, 1, v19
	s_wait_dscnt 0x0
	s_delay_alu instid0(VALU_DEP_2) | instskip(NEXT) | instid1(VALU_DEP_2)
	v_cmp_lt_u16_e64 s1, v21, v20
                                        ; implicit-def: $vgpr24
	v_dual_cndmask_b32 v22, v22, v17 :: v_dual_cndmask_b32 v23, v19, v23
	s_delay_alu instid0(VALU_DEP_1) | instskip(NEXT) | instid1(VALU_DEP_2)
	v_cmp_ge_i32_e64 s0, v22, v15
	v_cmp_lt_i32_e64 s2, v23, v14
	s_or_b32 s0, s0, s1
	s_delay_alu instid0(SALU_CYCLE_1) | instskip(NEXT) | instid1(SALU_CYCLE_1)
	s_and_b32 s0, s2, s0
	s_xor_b32 s1, s0, -1
	s_delay_alu instid0(SALU_CYCLE_1) | instskip(NEXT) | instid1(SALU_CYCLE_1)
	s_and_saveexec_b32 s2, s1
	s_xor_b32 s1, exec_lo, s2
; %bb.121:
	v_lshlrev_b32_e32 v24, 1, v22
	ds_load_u16 v24, v24 offset:2
; %bb.122:
	s_or_saveexec_b32 s1, s1
	v_mov_b32_e32 v25, v21
	s_xor_b32 exec_lo, exec_lo, s1
	s_cbranch_execz .LBB13_124
; %bb.123:
	s_wait_dscnt 0x0
	v_lshlrev_b32_e32 v24, 1, v23
	ds_load_u16 v25, v24 offset:2
	v_mov_b32_e32 v24, v20
.LBB13_124:
	s_or_b32 exec_lo, exec_lo, s1
	v_dual_add_nc_u32 v26, 1, v22 :: v_dual_add_nc_u32 v27, 1, v23
	s_wait_dscnt 0x0
	s_delay_alu instid0(VALU_DEP_2) | instskip(NEXT) | instid1(VALU_DEP_2)
	v_cmp_lt_u16_e64 s2, v25, v24
                                        ; implicit-def: $vgpr28
	v_dual_cndmask_b32 v26, v26, v22, s0 :: v_dual_cndmask_b32 v27, v23, v27, s0
	s_delay_alu instid0(VALU_DEP_1) | instskip(NEXT) | instid1(VALU_DEP_2)
	v_cmp_ge_i32_e64 s1, v26, v15
	v_cmp_lt_i32_e64 s3, v27, v14
	s_or_b32 s1, s1, s2
	s_delay_alu instid0(SALU_CYCLE_1) | instskip(NEXT) | instid1(SALU_CYCLE_1)
	s_and_b32 s1, s3, s1
	s_xor_b32 s2, s1, -1
	s_delay_alu instid0(SALU_CYCLE_1) | instskip(NEXT) | instid1(SALU_CYCLE_1)
	s_and_saveexec_b32 s3, s2
	s_xor_b32 s2, exec_lo, s3
; %bb.125:
	v_lshlrev_b32_e32 v28, 1, v26
	ds_load_u16 v28, v28 offset:2
; %bb.126:
	s_or_saveexec_b32 s2, s2
	v_mov_b32_e32 v29, v25
	s_xor_b32 exec_lo, exec_lo, s2
	s_cbranch_execz .LBB13_128
; %bb.127:
	s_wait_dscnt 0x0
	v_lshlrev_b32_e32 v28, 1, v27
	ds_load_u16 v29, v28 offset:2
	v_mov_b32_e32 v28, v24
.LBB13_128:
	s_or_b32 exec_lo, exec_lo, s2
	v_dual_add_nc_u32 v30, 1, v26 :: v_dual_add_nc_u32 v31, 1, v27
	s_wait_dscnt 0x0
	s_delay_alu instid0(VALU_DEP_2) | instskip(NEXT) | instid1(VALU_DEP_2)
	v_cmp_lt_u16_e64 s3, v29, v28
                                        ; implicit-def: $vgpr32
	v_dual_cndmask_b32 v30, v30, v26, s1 :: v_dual_cndmask_b32 v31, v27, v31, s1
	s_delay_alu instid0(VALU_DEP_1) | instskip(NEXT) | instid1(VALU_DEP_2)
	v_cmp_ge_i32_e64 s2, v30, v15
	v_cmp_lt_i32_e64 s4, v31, v14
	s_or_b32 s2, s2, s3
	s_delay_alu instid0(SALU_CYCLE_1) | instskip(NEXT) | instid1(SALU_CYCLE_1)
	s_and_b32 s2, s4, s2
	s_xor_b32 s3, s2, -1
	s_delay_alu instid0(SALU_CYCLE_1) | instskip(NEXT) | instid1(SALU_CYCLE_1)
	s_and_saveexec_b32 s4, s3
	s_xor_b32 s3, exec_lo, s4
; %bb.129:
	v_lshlrev_b32_e32 v32, 1, v30
	ds_load_u16 v32, v32 offset:2
; %bb.130:
	s_or_saveexec_b32 s3, s3
	v_mov_b32_e32 v33, v29
	s_xor_b32 exec_lo, exec_lo, s3
	s_cbranch_execz .LBB13_132
; %bb.131:
	s_wait_dscnt 0x0
	v_lshlrev_b32_e32 v32, 1, v31
	ds_load_u16 v33, v32 offset:2
	v_mov_b32_e32 v32, v28
.LBB13_132:
	s_or_b32 exec_lo, exec_lo, s3
	v_dual_add_nc_u32 v34, 1, v30 :: v_dual_add_nc_u32 v35, 1, v31
	s_wait_dscnt 0x0
	s_delay_alu instid0(VALU_DEP_2) | instskip(NEXT) | instid1(VALU_DEP_2)
	v_cmp_lt_u16_e64 s4, v33, v32
                                        ; implicit-def: $vgpr36
	v_dual_cndmask_b32 v34, v34, v30, s2 :: v_dual_cndmask_b32 v35, v31, v35, s2
	s_delay_alu instid0(VALU_DEP_1) | instskip(NEXT) | instid1(VALU_DEP_2)
	v_cmp_ge_i32_e64 s3, v34, v15
	v_cmp_lt_i32_e64 s5, v35, v14
	s_or_b32 s3, s3, s4
	s_delay_alu instid0(SALU_CYCLE_1) | instskip(NEXT) | instid1(SALU_CYCLE_1)
	s_and_b32 s3, s5, s3
	s_xor_b32 s4, s3, -1
	s_delay_alu instid0(SALU_CYCLE_1) | instskip(NEXT) | instid1(SALU_CYCLE_1)
	s_and_saveexec_b32 s5, s4
	s_xor_b32 s4, exec_lo, s5
; %bb.133:
	v_lshlrev_b32_e32 v36, 1, v34
	ds_load_u16 v36, v36 offset:2
; %bb.134:
	s_or_saveexec_b32 s4, s4
	v_mov_b32_e32 v37, v33
	s_xor_b32 exec_lo, exec_lo, s4
	s_cbranch_execz .LBB13_136
; %bb.135:
	s_wait_dscnt 0x0
	v_lshlrev_b32_e32 v36, 1, v35
	ds_load_u16 v37, v36 offset:2
	v_mov_b32_e32 v36, v32
.LBB13_136:
	s_or_b32 exec_lo, exec_lo, s4
	v_dual_add_nc_u32 v38, 1, v34 :: v_dual_add_nc_u32 v40, 1, v35
	s_wait_dscnt 0x0
	s_delay_alu instid0(VALU_DEP_2) | instskip(NEXT) | instid1(VALU_DEP_2)
	v_cmp_lt_u16_e64 s5, v37, v36
	v_dual_cndmask_b32 v39, v38, v34, s3 :: v_dual_cndmask_b32 v40, v35, v40, s3
                                        ; implicit-def: $vgpr38
	s_delay_alu instid0(VALU_DEP_1) | instskip(NEXT) | instid1(VALU_DEP_2)
	v_cmp_ge_i32_e64 s4, v39, v15
	v_cmp_lt_i32_e64 s6, v40, v14
	s_or_b32 s4, s4, s5
	s_delay_alu instid0(SALU_CYCLE_1) | instskip(NEXT) | instid1(SALU_CYCLE_1)
	s_and_b32 s4, s6, s4
	s_xor_b32 s5, s4, -1
	s_delay_alu instid0(SALU_CYCLE_1) | instskip(NEXT) | instid1(SALU_CYCLE_1)
	s_and_saveexec_b32 s6, s5
	s_xor_b32 s5, exec_lo, s6
; %bb.137:
	v_lshlrev_b32_e32 v38, 1, v39
	ds_load_u16 v38, v38 offset:2
; %bb.138:
	s_or_saveexec_b32 s5, s5
	v_mov_b32_e32 v41, v37
	s_xor_b32 exec_lo, exec_lo, s5
	s_cbranch_execz .LBB13_140
; %bb.139:
	s_wait_dscnt 0x0
	v_lshlrev_b32_e32 v38, 1, v40
	ds_load_u16 v41, v38 offset:2
	v_mov_b32_e32 v38, v36
.LBB13_140:
	s_or_b32 exec_lo, exec_lo, s5
	v_dual_add_nc_u32 v42, 1, v40 :: v_dual_add_nc_u32 v43, 1, v39
	v_dual_cndmask_b32 v36, v36, v37, s4 :: v_dual_cndmask_b32 v37, v39, v40, s4
	v_dual_cndmask_b32 v32, v32, v33, s3 :: v_dual_cndmask_b32 v33, v34, v35, s3
	s_delay_alu instid0(VALU_DEP_3) | instskip(SKIP_2) | instid1(VALU_DEP_3)
	v_dual_cndmask_b32 v40, v40, v42, s4 :: v_dual_cndmask_b32 v39, v43, v39, s4
	v_dual_cndmask_b32 v28, v28, v29, s2 :: v_dual_cndmask_b32 v29, v30, v31, s2
	;; [unrolled: 1-line block ×3, first 2 shown]
	v_cmp_lt_i32_e64 s3, v40, v14
	v_and_b32_e32 v14, 0xc0, v0
	v_cmp_ge_i32_e64 s1, v39, v15
	s_wait_dscnt 0x0
	v_cmp_lt_u16_e64 s2, v41, v38
	v_dual_cndmask_b32 v20, v20, v21, s0 :: v_dual_cndmask_b32 v21, v22, v23, s0
	v_mul_u32_u24_e32 v22, 7, v14
	v_dual_cndmask_b32 v18, v16, v18 :: v_dual_cndmask_b32 v17, v17, v19
	s_or_b32 s0, s1, s2
	s_delay_alu instid0(SALU_CYCLE_1)
	s_and_b32 vcc_lo, s3, s0
	s_barrier_signal -1
	s_barrier_wait -1
	ds_store_b8 v2, v3
	ds_store_b8 v2, v9 offset:1
	ds_store_b8 v2, v10 offset:2
	;; [unrolled: 1-line block ×6, first 2 shown]
	v_min_u32_e32 v16, 0x620, v22
	v_min_u32_e32 v1, 0x540, v22
	v_dual_cndmask_b32 v26, v38, v41 :: v_dual_cndmask_b32 v19, v39, v40
	s_wait_dscnt 0x0
	s_barrier_signal -1
	s_barrier_wait -1
	v_add_nc_u32_e32 v15, 0xe0, v16
	v_add_nc_u32_e32 v14, 0x1c0, v1
	v_and_b32_e32 v23, 63, v0
	ds_load_u8 v3, v17
	ds_load_u8 v1, v19
	;; [unrolled: 1-line block ×7, first 2 shown]
	v_min_u32_e32 v19, 0x700, v22
	v_perm_b32 v22, v20, v18, 0x5040100
	v_sub_nc_u32_e32 v21, v14, v15
	v_mul_u32_u24_e32 v17, 7, v23
	v_perm_b32 v23, v28, v25, 0x5040100
	v_perm_b32 v24, v36, v32, 0x5040100
	v_lshlrev_b32_e32 v18, 1, v19
	s_mov_b32 s1, 0
	v_sub_nc_u32_e32 v25, v17, v21
	v_cmp_ge_i32_e32 vcc_lo, v17, v21
	s_mov_b32 s0, exec_lo
	s_wait_dscnt 0x0
	s_barrier_signal -1
	s_barrier_wait -1
	v_dual_cndmask_b32 v20, 0, v25 :: v_dual_sub_nc_u32 v27, v15, v19
	ds_store_b96 v8, v[22:24]
	ds_store_b16 v8, v26 offset:12
	s_wait_dscnt 0x0
	s_barrier_signal -1
	v_min_i32_e32 v21, v17, v27
	s_barrier_wait -1
	s_delay_alu instid0(VALU_DEP_1)
	v_cmpx_lt_i32_e64 v20, v21
	s_cbranch_execz .LBB13_144
; %bb.141:
	v_lshlrev_b32_e32 v22, 1, v17
	s_delay_alu instid0(VALU_DEP_1)
	v_lshl_add_u32 v22, v16, 1, v22
.LBB13_142:                             ; =>This Inner Loop Header: Depth=1
	v_sub_nc_u32_e32 v23, v21, v20
	s_delay_alu instid0(VALU_DEP_1) | instskip(NEXT) | instid1(VALU_DEP_1)
	v_lshrrev_b32_e32 v23, 1, v23
	v_add_nc_u32_e32 v23, v23, v20
	s_delay_alu instid0(VALU_DEP_1) | instskip(SKIP_1) | instid1(VALU_DEP_2)
	v_not_b32_e32 v24, v23
	v_lshl_add_u32 v25, v23, 1, v18
	v_lshl_add_u32 v24, v24, 1, v22
	ds_load_u16 v25, v25
	ds_load_u16 v24, v24 offset:448
	s_wait_dscnt 0x0
	v_cmp_lt_u16_e32 vcc_lo, v24, v25
	v_dual_cndmask_b32 v21, v21, v23 :: v_dual_add_nc_u32 v26, 1, v23
	s_delay_alu instid0(VALU_DEP_1) | instskip(NEXT) | instid1(VALU_DEP_1)
	v_cndmask_b32_e32 v20, v26, v20, vcc_lo
	v_cmp_ge_i32_e32 vcc_lo, v20, v21
	s_or_b32 s1, vcc_lo, s1
	s_delay_alu instid0(SALU_CYCLE_1)
	s_and_not1_b32 exec_lo, exec_lo, s1
	s_cbranch_execnz .LBB13_142
; %bb.143:
	s_or_b32 exec_lo, exec_lo, s1
.LBB13_144:
	s_delay_alu instid0(SALU_CYCLE_1) | instskip(SKIP_3) | instid1(VALU_DEP_3)
	s_or_b32 exec_lo, exec_lo, s0
	v_dual_add_nc_u32 v16, v16, v17 :: v_dual_add_nc_u32 v23, v15, v17
	v_lshl_add_u32 v21, v20, 1, v18
	v_add_nc_u32_e32 v17, v20, v19
	v_dual_sub_nc_u32 v16, v16, v20 :: v_dual_sub_nc_u32 v19, v23, v20
                                        ; implicit-def: $vgpr20
	s_delay_alu instid0(VALU_DEP_2) | instskip(NEXT) | instid1(VALU_DEP_2)
	v_cmp_le_i32_e32 vcc_lo, v15, v17
	v_lshlrev_b32_e32 v22, 1, v16
	s_delay_alu instid0(VALU_DEP_3)
	v_cmp_gt_i32_e64 s1, v14, v19
	ds_load_u16 v16, v21
	ds_load_u16 v18, v22 offset:448
	s_wait_dscnt 0x0
	v_cmp_lt_u16_e64 s0, v18, v16
	s_or_b32 s0, vcc_lo, s0
	s_delay_alu instid0(SALU_CYCLE_1) | instskip(NEXT) | instid1(SALU_CYCLE_1)
	s_and_b32 vcc_lo, s1, s0
	s_xor_b32 s0, vcc_lo, -1
	s_delay_alu instid0(SALU_CYCLE_1) | instskip(NEXT) | instid1(SALU_CYCLE_1)
	s_and_saveexec_b32 s1, s0
	s_xor_b32 s0, exec_lo, s1
; %bb.145:
	ds_load_u16 v20, v21 offset:2
                                        ; implicit-def: $vgpr22
; %bb.146:
	s_or_saveexec_b32 s0, s0
	v_mov_b32_e32 v21, v18
	s_xor_b32 exec_lo, exec_lo, s0
	s_cbranch_execz .LBB13_148
; %bb.147:
	ds_load_u16 v21, v22 offset:450
	s_wait_dscnt 0x1
	v_mov_b32_e32 v20, v16
.LBB13_148:
	s_or_b32 exec_lo, exec_lo, s0
	v_dual_add_nc_u32 v22, 1, v17 :: v_dual_add_nc_u32 v23, 1, v19
	s_wait_dscnt 0x0
	s_delay_alu instid0(VALU_DEP_2) | instskip(NEXT) | instid1(VALU_DEP_2)
	v_cmp_lt_u16_e64 s1, v21, v20
                                        ; implicit-def: $vgpr24
	v_dual_cndmask_b32 v22, v22, v17 :: v_dual_cndmask_b32 v23, v19, v23
	s_delay_alu instid0(VALU_DEP_1) | instskip(NEXT) | instid1(VALU_DEP_2)
	v_cmp_ge_i32_e64 s0, v22, v15
	v_cmp_lt_i32_e64 s2, v23, v14
	s_or_b32 s0, s0, s1
	s_delay_alu instid0(SALU_CYCLE_1) | instskip(NEXT) | instid1(SALU_CYCLE_1)
	s_and_b32 s0, s2, s0
	s_xor_b32 s1, s0, -1
	s_delay_alu instid0(SALU_CYCLE_1) | instskip(NEXT) | instid1(SALU_CYCLE_1)
	s_and_saveexec_b32 s2, s1
	s_xor_b32 s1, exec_lo, s2
; %bb.149:
	v_lshlrev_b32_e32 v24, 1, v22
	ds_load_u16 v24, v24 offset:2
; %bb.150:
	s_or_saveexec_b32 s1, s1
	v_mov_b32_e32 v25, v21
	s_xor_b32 exec_lo, exec_lo, s1
	s_cbranch_execz .LBB13_152
; %bb.151:
	s_wait_dscnt 0x0
	v_lshlrev_b32_e32 v24, 1, v23
	ds_load_u16 v25, v24 offset:2
	v_mov_b32_e32 v24, v20
.LBB13_152:
	s_or_b32 exec_lo, exec_lo, s1
	v_dual_add_nc_u32 v26, 1, v22 :: v_dual_add_nc_u32 v27, 1, v23
	s_wait_dscnt 0x0
	s_delay_alu instid0(VALU_DEP_2) | instskip(NEXT) | instid1(VALU_DEP_2)
	v_cmp_lt_u16_e64 s2, v25, v24
                                        ; implicit-def: $vgpr28
	v_dual_cndmask_b32 v26, v26, v22, s0 :: v_dual_cndmask_b32 v27, v23, v27, s0
	s_delay_alu instid0(VALU_DEP_1) | instskip(NEXT) | instid1(VALU_DEP_2)
	v_cmp_ge_i32_e64 s1, v26, v15
	v_cmp_lt_i32_e64 s3, v27, v14
	s_or_b32 s1, s1, s2
	s_delay_alu instid0(SALU_CYCLE_1) | instskip(NEXT) | instid1(SALU_CYCLE_1)
	s_and_b32 s1, s3, s1
	s_xor_b32 s2, s1, -1
	s_delay_alu instid0(SALU_CYCLE_1) | instskip(NEXT) | instid1(SALU_CYCLE_1)
	s_and_saveexec_b32 s3, s2
	s_xor_b32 s2, exec_lo, s3
; %bb.153:
	v_lshlrev_b32_e32 v28, 1, v26
	ds_load_u16 v28, v28 offset:2
; %bb.154:
	s_or_saveexec_b32 s2, s2
	v_mov_b32_e32 v29, v25
	s_xor_b32 exec_lo, exec_lo, s2
	s_cbranch_execz .LBB13_156
; %bb.155:
	s_wait_dscnt 0x0
	v_lshlrev_b32_e32 v28, 1, v27
	ds_load_u16 v29, v28 offset:2
	v_mov_b32_e32 v28, v24
.LBB13_156:
	s_or_b32 exec_lo, exec_lo, s2
	v_dual_add_nc_u32 v30, 1, v26 :: v_dual_add_nc_u32 v31, 1, v27
	s_wait_dscnt 0x0
	s_delay_alu instid0(VALU_DEP_2) | instskip(NEXT) | instid1(VALU_DEP_2)
	v_cmp_lt_u16_e64 s3, v29, v28
                                        ; implicit-def: $vgpr32
	v_dual_cndmask_b32 v30, v30, v26, s1 :: v_dual_cndmask_b32 v31, v27, v31, s1
	s_delay_alu instid0(VALU_DEP_1) | instskip(NEXT) | instid1(VALU_DEP_2)
	v_cmp_ge_i32_e64 s2, v30, v15
	v_cmp_lt_i32_e64 s4, v31, v14
	s_or_b32 s2, s2, s3
	s_delay_alu instid0(SALU_CYCLE_1) | instskip(NEXT) | instid1(SALU_CYCLE_1)
	s_and_b32 s2, s4, s2
	s_xor_b32 s3, s2, -1
	s_delay_alu instid0(SALU_CYCLE_1) | instskip(NEXT) | instid1(SALU_CYCLE_1)
	s_and_saveexec_b32 s4, s3
	s_xor_b32 s3, exec_lo, s4
; %bb.157:
	v_lshlrev_b32_e32 v32, 1, v30
	ds_load_u16 v32, v32 offset:2
; %bb.158:
	s_or_saveexec_b32 s3, s3
	v_mov_b32_e32 v33, v29
	s_xor_b32 exec_lo, exec_lo, s3
	s_cbranch_execz .LBB13_160
; %bb.159:
	s_wait_dscnt 0x0
	v_lshlrev_b32_e32 v32, 1, v31
	ds_load_u16 v33, v32 offset:2
	v_mov_b32_e32 v32, v28
.LBB13_160:
	s_or_b32 exec_lo, exec_lo, s3
	v_dual_add_nc_u32 v34, 1, v30 :: v_dual_add_nc_u32 v35, 1, v31
	s_wait_dscnt 0x0
	s_delay_alu instid0(VALU_DEP_2) | instskip(NEXT) | instid1(VALU_DEP_2)
	v_cmp_lt_u16_e64 s4, v33, v32
                                        ; implicit-def: $vgpr36
	v_dual_cndmask_b32 v34, v34, v30, s2 :: v_dual_cndmask_b32 v35, v31, v35, s2
	s_delay_alu instid0(VALU_DEP_1) | instskip(NEXT) | instid1(VALU_DEP_2)
	v_cmp_ge_i32_e64 s3, v34, v15
	v_cmp_lt_i32_e64 s5, v35, v14
	s_or_b32 s3, s3, s4
	s_delay_alu instid0(SALU_CYCLE_1) | instskip(NEXT) | instid1(SALU_CYCLE_1)
	s_and_b32 s3, s5, s3
	s_xor_b32 s4, s3, -1
	s_delay_alu instid0(SALU_CYCLE_1) | instskip(NEXT) | instid1(SALU_CYCLE_1)
	s_and_saveexec_b32 s5, s4
	s_xor_b32 s4, exec_lo, s5
; %bb.161:
	v_lshlrev_b32_e32 v36, 1, v34
	ds_load_u16 v36, v36 offset:2
; %bb.162:
	s_or_saveexec_b32 s4, s4
	v_mov_b32_e32 v37, v33
	s_xor_b32 exec_lo, exec_lo, s4
	s_cbranch_execz .LBB13_164
; %bb.163:
	s_wait_dscnt 0x0
	v_lshlrev_b32_e32 v36, 1, v35
	ds_load_u16 v37, v36 offset:2
	v_mov_b32_e32 v36, v32
.LBB13_164:
	s_or_b32 exec_lo, exec_lo, s4
	v_dual_add_nc_u32 v38, 1, v34 :: v_dual_add_nc_u32 v40, 1, v35
	s_wait_dscnt 0x0
	s_delay_alu instid0(VALU_DEP_2) | instskip(NEXT) | instid1(VALU_DEP_2)
	v_cmp_lt_u16_e64 s5, v37, v36
	v_dual_cndmask_b32 v39, v38, v34, s3 :: v_dual_cndmask_b32 v40, v35, v40, s3
                                        ; implicit-def: $vgpr38
	s_delay_alu instid0(VALU_DEP_1) | instskip(NEXT) | instid1(VALU_DEP_2)
	v_cmp_ge_i32_e64 s4, v39, v15
	v_cmp_lt_i32_e64 s6, v40, v14
	s_or_b32 s4, s4, s5
	s_delay_alu instid0(SALU_CYCLE_1) | instskip(NEXT) | instid1(SALU_CYCLE_1)
	s_and_b32 s4, s6, s4
	s_xor_b32 s5, s4, -1
	s_delay_alu instid0(SALU_CYCLE_1) | instskip(NEXT) | instid1(SALU_CYCLE_1)
	s_and_saveexec_b32 s6, s5
	s_xor_b32 s5, exec_lo, s6
; %bb.165:
	v_lshlrev_b32_e32 v38, 1, v39
	ds_load_u16 v38, v38 offset:2
; %bb.166:
	s_or_saveexec_b32 s5, s5
	v_mov_b32_e32 v41, v37
	s_xor_b32 exec_lo, exec_lo, s5
	s_cbranch_execz .LBB13_168
; %bb.167:
	s_wait_dscnt 0x0
	v_lshlrev_b32_e32 v38, 1, v40
	ds_load_u16 v41, v38 offset:2
	v_mov_b32_e32 v38, v36
.LBB13_168:
	s_or_b32 exec_lo, exec_lo, s5
	v_dual_add_nc_u32 v42, 1, v40 :: v_dual_add_nc_u32 v43, 1, v39
	v_dual_cndmask_b32 v36, v36, v37, s4 :: v_dual_cndmask_b32 v37, v39, v40, s4
	v_dual_cndmask_b32 v32, v32, v33, s3 :: v_dual_cndmask_b32 v33, v34, v35, s3
	s_delay_alu instid0(VALU_DEP_3) | instskip(SKIP_2) | instid1(VALU_DEP_3)
	v_dual_cndmask_b32 v40, v40, v42, s4 :: v_dual_cndmask_b32 v39, v43, v39, s4
	v_dual_cndmask_b32 v28, v28, v29, s2 :: v_dual_cndmask_b32 v29, v30, v31, s2
	;; [unrolled: 1-line block ×3, first 2 shown]
	v_cmp_lt_i32_e64 s3, v40, v14
	v_and_b32_e32 v14, 0x80, v0
	v_cmp_ge_i32_e64 s1, v39, v15
	s_wait_dscnt 0x0
	v_cmp_lt_u16_e64 s2, v41, v38
	v_dual_cndmask_b32 v16, v16, v18 :: v_dual_cndmask_b32 v17, v17, v19
	v_mul_u32_u24_e32 v19, 7, v14
	v_dual_cndmask_b32 v20, v20, v21, s0 :: v_dual_cndmask_b32 v21, v22, v23, s0
	s_or_b32 s0, s1, s2
	s_delay_alu instid0(SALU_CYCLE_1)
	s_and_b32 vcc_lo, s3, s0
	s_barrier_signal -1
	s_barrier_wait -1
	ds_store_b8 v2, v3
	ds_store_b8 v2, v9 offset:1
	ds_store_b8 v2, v10 offset:2
	ds_store_b8 v2, v11 offset:3
	ds_store_b8 v2, v12 offset:4
	ds_store_b8 v2, v13 offset:5
	ds_store_b8 v2, v1 offset:6
	v_min_u32_e32 v1, 0x380, v19
	v_dual_cndmask_b32 v26, v38, v41, vcc_lo :: v_dual_cndmask_b32 v18, v39, v40, vcc_lo
	s_wait_dscnt 0x0
	s_barrier_signal -1
	v_min_u32_e32 v15, 0x540, v19
	s_barrier_wait -1
	v_and_b32_e32 v22, 0x7f, v0
	v_add_nc_u32_e32 v13, 0x380, v1
	ds_load_u8 v1, v17
	ds_load_u8 v0, v18
	;; [unrolled: 1-line block ×7, first 2 shown]
	v_add_nc_u32_e32 v14, 0x1c0, v15
	v_min_u32_e32 v18, 0x700, v19
	v_mul_u32_u24_e32 v17, 7, v22
	v_perm_b32 v23, v28, v25, 0x5040100
	v_perm_b32 v24, v36, v32, 0x5040100
	v_sub_nc_u32_e32 v21, v13, v14
	v_sub_nc_u32_e32 v25, v14, v18
	v_perm_b32 v22, v20, v16, 0x5040100
	v_lshlrev_b32_e32 v16, 1, v18
	s_mov_b32 s1, 0
	v_sub_nc_u32_e32 v19, v17, v21
	v_cmp_ge_i32_e32 vcc_lo, v17, v21
	s_mov_b32 s0, exec_lo
	s_wait_dscnt 0x0
	s_barrier_signal -1
	s_barrier_wait -1
	v_dual_cndmask_b32 v20, 0, v19 :: v_dual_min_i32 v19, v17, v25
	ds_store_b96 v8, v[22:24]
	ds_store_b16 v8, v26 offset:12
	s_wait_dscnt 0x0
	s_barrier_signal -1
	s_barrier_wait -1
	v_cmpx_lt_i32_e64 v20, v19
	s_cbranch_execz .LBB13_172
; %bb.169:
	v_lshlrev_b32_e32 v21, 1, v17
	s_delay_alu instid0(VALU_DEP_1)
	v_lshl_add_u32 v21, v15, 1, v21
.LBB13_170:                             ; =>This Inner Loop Header: Depth=1
	v_sub_nc_u32_e32 v22, v19, v20
	s_delay_alu instid0(VALU_DEP_1) | instskip(NEXT) | instid1(VALU_DEP_1)
	v_lshrrev_b32_e32 v22, 1, v22
	v_add_nc_u32_e32 v22, v22, v20
	s_delay_alu instid0(VALU_DEP_1) | instskip(SKIP_1) | instid1(VALU_DEP_2)
	v_not_b32_e32 v23, v22
	v_lshl_add_u32 v24, v22, 1, v16
	v_lshl_add_u32 v23, v23, 1, v21
	ds_load_u16 v24, v24
	ds_load_u16 v23, v23 offset:896
	s_wait_dscnt 0x0
	v_cmp_lt_u16_e32 vcc_lo, v23, v24
	v_dual_add_nc_u32 v25, 1, v22 :: v_dual_cndmask_b32 v19, v19, v22, vcc_lo
	s_delay_alu instid0(VALU_DEP_1) | instskip(NEXT) | instid1(VALU_DEP_1)
	v_cndmask_b32_e32 v20, v25, v20, vcc_lo
	v_cmp_ge_i32_e32 vcc_lo, v20, v19
	s_or_b32 s1, vcc_lo, s1
	s_delay_alu instid0(SALU_CYCLE_1)
	s_and_not1_b32 exec_lo, exec_lo, s1
	s_cbranch_execnz .LBB13_170
; %bb.171:
	s_or_b32 exec_lo, exec_lo, s1
.LBB13_172:
	s_delay_alu instid0(SALU_CYCLE_1) | instskip(SKIP_2) | instid1(VALU_DEP_2)
	s_or_b32 exec_lo, exec_lo, s0
	v_dual_add_nc_u32 v15, v15, v17 :: v_dual_add_nc_u32 v17, v14, v17
	v_lshl_add_u32 v22, v20, 1, v16
	v_dual_add_nc_u32 v19, v20, v18 :: v_dual_sub_nc_u32 v15, v15, v20
	s_delay_alu instid0(VALU_DEP_3) | instskip(NEXT) | instid1(VALU_DEP_2)
	v_sub_nc_u32_e32 v20, v17, v20
                                        ; implicit-def: $vgpr17
	v_cmp_le_i32_e32 vcc_lo, v14, v19
	s_delay_alu instid0(VALU_DEP_3)
	v_lshlrev_b32_e32 v21, 1, v15
	ds_load_u16 v15, v22
	ds_load_u16 v16, v21 offset:896
	v_cmp_gt_i32_e64 s1, v13, v20
	s_wait_dscnt 0x0
	v_cmp_lt_u16_e64 s0, v16, v15
	s_or_b32 s0, vcc_lo, s0
	s_delay_alu instid0(SALU_CYCLE_1) | instskip(NEXT) | instid1(SALU_CYCLE_1)
	s_and_b32 vcc_lo, s1, s0
	s_xor_b32 s0, vcc_lo, -1
	s_delay_alu instid0(SALU_CYCLE_1) | instskip(NEXT) | instid1(SALU_CYCLE_1)
	s_and_saveexec_b32 s1, s0
	s_xor_b32 s0, exec_lo, s1
; %bb.173:
	ds_load_u16 v17, v22 offset:2
                                        ; implicit-def: $vgpr21
; %bb.174:
	s_or_saveexec_b32 s0, s0
	v_mov_b32_e32 v18, v16
	s_xor_b32 exec_lo, exec_lo, s0
	s_cbranch_execz .LBB13_176
; %bb.175:
	ds_load_u16 v18, v21 offset:898
	s_wait_dscnt 0x1
	v_mov_b32_e32 v17, v15
.LBB13_176:
	s_or_b32 exec_lo, exec_lo, s0
	v_dual_add_nc_u32 v21, 1, v19 :: v_dual_add_nc_u32 v22, 1, v20
	s_wait_dscnt 0x0
	s_delay_alu instid0(VALU_DEP_2) | instskip(NEXT) | instid1(VALU_DEP_2)
	v_cmp_lt_u16_e64 s1, v18, v17
	v_dual_cndmask_b32 v23, v21, v19 :: v_dual_cndmask_b32 v24, v20, v22
                                        ; implicit-def: $vgpr21
	s_delay_alu instid0(VALU_DEP_1) | instskip(NEXT) | instid1(VALU_DEP_2)
	v_cmp_ge_i32_e64 s0, v23, v14
	v_cmp_lt_i32_e64 s2, v24, v13
	s_or_b32 s0, s0, s1
	s_delay_alu instid0(SALU_CYCLE_1) | instskip(NEXT) | instid1(SALU_CYCLE_1)
	s_and_b32 s0, s2, s0
	s_xor_b32 s1, s0, -1
	s_delay_alu instid0(SALU_CYCLE_1) | instskip(NEXT) | instid1(SALU_CYCLE_1)
	s_and_saveexec_b32 s2, s1
	s_xor_b32 s1, exec_lo, s2
; %bb.177:
	v_lshlrev_b32_e32 v21, 1, v23
	ds_load_u16 v21, v21 offset:2
; %bb.178:
	s_or_saveexec_b32 s1, s1
	v_mov_b32_e32 v22, v18
	s_xor_b32 exec_lo, exec_lo, s1
	s_cbranch_execz .LBB13_180
; %bb.179:
	s_wait_dscnt 0x0
	v_lshlrev_b32_e32 v21, 1, v24
	ds_load_u16 v22, v21 offset:2
	v_mov_b32_e32 v21, v17
.LBB13_180:
	s_or_b32 exec_lo, exec_lo, s1
	v_dual_add_nc_u32 v25, 1, v23 :: v_dual_add_nc_u32 v26, 1, v24
	s_wait_dscnt 0x0
	s_delay_alu instid0(VALU_DEP_2) | instskip(NEXT) | instid1(VALU_DEP_2)
	v_cmp_lt_u16_e64 s2, v22, v21
                                        ; implicit-def: $vgpr27
	v_dual_cndmask_b32 v25, v25, v23, s0 :: v_dual_cndmask_b32 v26, v24, v26, s0
	s_delay_alu instid0(VALU_DEP_1) | instskip(NEXT) | instid1(VALU_DEP_2)
	v_cmp_ge_i32_e64 s1, v25, v14
	v_cmp_lt_i32_e64 s3, v26, v13
	s_or_b32 s1, s1, s2
	s_delay_alu instid0(SALU_CYCLE_1) | instskip(NEXT) | instid1(SALU_CYCLE_1)
	s_and_b32 s1, s3, s1
	s_xor_b32 s2, s1, -1
	s_delay_alu instid0(SALU_CYCLE_1) | instskip(NEXT) | instid1(SALU_CYCLE_1)
	s_and_saveexec_b32 s3, s2
	s_xor_b32 s2, exec_lo, s3
; %bb.181:
	v_lshlrev_b32_e32 v27, 1, v25
	ds_load_u16 v27, v27 offset:2
; %bb.182:
	s_or_saveexec_b32 s2, s2
	v_mov_b32_e32 v28, v22
	s_xor_b32 exec_lo, exec_lo, s2
	s_cbranch_execz .LBB13_184
; %bb.183:
	s_wait_dscnt 0x0
	v_lshlrev_b32_e32 v27, 1, v26
	ds_load_u16 v28, v27 offset:2
	v_mov_b32_e32 v27, v21
.LBB13_184:
	s_or_b32 exec_lo, exec_lo, s2
	v_dual_add_nc_u32 v29, 1, v25 :: v_dual_add_nc_u32 v30, 1, v26
	s_wait_dscnt 0x0
	s_delay_alu instid0(VALU_DEP_2) | instskip(NEXT) | instid1(VALU_DEP_2)
	v_cmp_lt_u16_e64 s3, v28, v27
                                        ; implicit-def: $vgpr31
	v_dual_cndmask_b32 v29, v29, v25, s1 :: v_dual_cndmask_b32 v30, v26, v30, s1
	s_delay_alu instid0(VALU_DEP_1) | instskip(NEXT) | instid1(VALU_DEP_2)
	v_cmp_ge_i32_e64 s2, v29, v14
	v_cmp_lt_i32_e64 s4, v30, v13
	s_or_b32 s2, s2, s3
	s_delay_alu instid0(SALU_CYCLE_1) | instskip(NEXT) | instid1(SALU_CYCLE_1)
	s_and_b32 s2, s4, s2
	s_xor_b32 s3, s2, -1
	s_delay_alu instid0(SALU_CYCLE_1) | instskip(NEXT) | instid1(SALU_CYCLE_1)
	s_and_saveexec_b32 s4, s3
	s_xor_b32 s3, exec_lo, s4
; %bb.185:
	v_lshlrev_b32_e32 v31, 1, v29
	ds_load_u16 v31, v31 offset:2
; %bb.186:
	s_or_saveexec_b32 s3, s3
	v_mov_b32_e32 v32, v28
	s_xor_b32 exec_lo, exec_lo, s3
	s_cbranch_execz .LBB13_188
; %bb.187:
	s_wait_dscnt 0x0
	v_lshlrev_b32_e32 v31, 1, v30
	ds_load_u16 v32, v31 offset:2
	v_mov_b32_e32 v31, v27
.LBB13_188:
	s_or_b32 exec_lo, exec_lo, s3
	v_dual_add_nc_u32 v33, 1, v29 :: v_dual_add_nc_u32 v34, 1, v30
	s_wait_dscnt 0x0
	s_delay_alu instid0(VALU_DEP_2) | instskip(NEXT) | instid1(VALU_DEP_2)
	v_cmp_lt_u16_e64 s4, v32, v31
                                        ; implicit-def: $vgpr35
	v_dual_cndmask_b32 v33, v33, v29, s2 :: v_dual_cndmask_b32 v34, v30, v34, s2
	s_delay_alu instid0(VALU_DEP_1) | instskip(NEXT) | instid1(VALU_DEP_2)
	v_cmp_ge_i32_e64 s3, v33, v14
	v_cmp_lt_i32_e64 s5, v34, v13
	s_or_b32 s3, s3, s4
	s_delay_alu instid0(SALU_CYCLE_1) | instskip(NEXT) | instid1(SALU_CYCLE_1)
	s_and_b32 s3, s5, s3
	s_xor_b32 s4, s3, -1
	s_delay_alu instid0(SALU_CYCLE_1) | instskip(NEXT) | instid1(SALU_CYCLE_1)
	s_and_saveexec_b32 s5, s4
	s_xor_b32 s4, exec_lo, s5
; %bb.189:
	v_lshlrev_b32_e32 v35, 1, v33
	ds_load_u16 v35, v35 offset:2
; %bb.190:
	s_or_saveexec_b32 s4, s4
	v_mov_b32_e32 v36, v32
	s_xor_b32 exec_lo, exec_lo, s4
	s_cbranch_execz .LBB13_192
; %bb.191:
	s_wait_dscnt 0x0
	v_lshlrev_b32_e32 v35, 1, v34
	ds_load_u16 v36, v35 offset:2
	v_mov_b32_e32 v35, v31
.LBB13_192:
	s_or_b32 exec_lo, exec_lo, s4
	v_dual_add_nc_u32 v37, 1, v33 :: v_dual_add_nc_u32 v38, 1, v34
	s_wait_dscnt 0x0
	s_delay_alu instid0(VALU_DEP_2) | instskip(NEXT) | instid1(VALU_DEP_2)
	v_cmp_lt_u16_e64 s5, v36, v35
	v_dual_cndmask_b32 v39, v37, v33, s3 :: v_dual_cndmask_b32 v38, v34, v38, s3
                                        ; implicit-def: $vgpr37
	s_delay_alu instid0(VALU_DEP_1) | instskip(NEXT) | instid1(VALU_DEP_2)
	v_cmp_ge_i32_e64 s4, v39, v14
	v_cmp_lt_i32_e64 s6, v38, v13
	s_or_b32 s4, s4, s5
	s_delay_alu instid0(SALU_CYCLE_1) | instskip(NEXT) | instid1(SALU_CYCLE_1)
	s_and_b32 s4, s6, s4
	s_xor_b32 s5, s4, -1
	s_delay_alu instid0(SALU_CYCLE_1) | instskip(NEXT) | instid1(SALU_CYCLE_1)
	s_and_saveexec_b32 s6, s5
	s_xor_b32 s5, exec_lo, s6
; %bb.193:
	v_lshlrev_b32_e32 v37, 1, v39
	ds_load_u16 v37, v37 offset:2
; %bb.194:
	s_or_saveexec_b32 s5, s5
	v_mov_b32_e32 v40, v36
	s_xor_b32 exec_lo, exec_lo, s5
	s_cbranch_execz .LBB13_196
; %bb.195:
	s_wait_dscnt 0x0
	v_lshlrev_b32_e32 v37, 1, v38
	ds_load_u16 v40, v37 offset:2
	v_mov_b32_e32 v37, v35
.LBB13_196:
	s_or_b32 exec_lo, exec_lo, s5
	v_dual_add_nc_u32 v41, 1, v39 :: v_dual_cndmask_b32 v35, v35, v36, s4
	v_dual_add_nc_u32 v36, 1, v38 :: v_dual_cndmask_b32 v42, v39, v38, s4
	s_delay_alu instid0(VALU_DEP_2) | instskip(NEXT) | instid1(VALU_DEP_2)
	v_dual_cndmask_b32 v31, v31, v32, s3 :: v_dual_cndmask_b32 v32, v41, v39, s4
	v_dual_cndmask_b32 v33, v33, v34, s3 :: v_dual_cndmask_b32 v34, v38, v36, s4
	s_wait_dscnt 0x0
	v_cmp_lt_u16_e64 s3, v40, v37
	v_cndmask_b32_e64 v27, v27, v28, s2
	v_cmp_ge_i32_e64 s4, v32, v14
	v_cndmask_b32_e64 v14, v29, v30, s2
	v_cmp_lt_i32_e64 s2, v34, v13
	v_dual_cndmask_b32 v13, v25, v26, s1 :: v_dual_cndmask_b32 v23, v23, v24, s0
	s_or_b32 s3, s4, s3
	s_delay_alu instid0(SALU_CYCLE_1) | instskip(NEXT) | instid1(SALU_CYCLE_1)
	s_and_b32 s2, s2, s3
	v_dual_cndmask_b32 v19, v19, v20, vcc_lo :: v_dual_cndmask_b32 v24, v32, v34, s2
	s_barrier_signal -1
	s_barrier_wait -1
	ds_store_b8 v2, v1
	ds_store_b8 v2, v3 offset:1
	ds_store_b8 v2, v9 offset:2
	;; [unrolled: 1-line block ×6, first 2 shown]
	s_wait_dscnt 0x0
	s_barrier_signal -1
	s_barrier_wait -1
	ds_load_u8 v0, v19
	ds_load_u8 v1, v24
	;; [unrolled: 1-line block ×7, first 2 shown]
	v_dual_cndmask_b32 v13, v21, v22, s1 :: v_dual_cndmask_b32 v15, v15, v16, vcc_lo
	v_cndmask_b32_e64 v14, v17, v18, s0
	v_perm_b32 v18, v35, v31, 0x5040100
	v_cndmask_b32_e64 v20, v37, v40, s2
	s_delay_alu instid0(VALU_DEP_4)
	v_perm_b32 v17, v27, v13, 0x5040100
	v_subrev_nc_u32_e64 v13, 0x380, v2 clamp
	v_perm_b32 v16, v14, v15, 0x5040100
	v_min_i32_e32 v14, 0x380, v2
	s_mov_b32 s0, exec_lo
	s_wait_dscnt 0x0
	s_barrier_signal -1
	s_barrier_wait -1
	ds_store_b96 v8, v[16:18]
	ds_store_b16 v8, v20 offset:12
	s_wait_dscnt 0x0
	s_barrier_signal -1
	s_barrier_wait -1
	v_cmpx_lt_i32_e64 v13, v14
	s_cbranch_execz .LBB13_200
; %bb.197:
	s_mov_b32 s1, 0
.LBB13_198:                             ; =>This Inner Loop Header: Depth=1
	v_sub_nc_u32_e32 v15, v14, v13
	s_delay_alu instid0(VALU_DEP_1) | instskip(NEXT) | instid1(VALU_DEP_1)
	v_lshrrev_b32_e32 v15, 1, v15
	v_add_nc_u32_e32 v15, v15, v13
	s_delay_alu instid0(VALU_DEP_1) | instskip(SKIP_1) | instid1(VALU_DEP_2)
	v_not_b32_e32 v16, v15
	v_dual_lshlrev_b32 v17, 1, v15 :: v_dual_add_nc_u32 v18, 1, v15
	v_lshl_add_u32 v16, v16, 1, v8
	ds_load_u16 v17, v17
	ds_load_u16 v16, v16 offset:1792
	s_wait_dscnt 0x0
	v_cmp_lt_u16_e32 vcc_lo, v16, v17
	v_cndmask_b32_e32 v14, v14, v15, vcc_lo
	v_cndmask_b32_e32 v13, v18, v13, vcc_lo
	s_delay_alu instid0(VALU_DEP_1) | instskip(SKIP_1) | instid1(SALU_CYCLE_1)
	v_cmp_ge_i32_e32 vcc_lo, v13, v14
	s_or_b32 s1, vcc_lo, s1
	s_and_not1_b32 exec_lo, exec_lo, s1
	s_cbranch_execnz .LBB13_198
; %bb.199:
	s_or_b32 exec_lo, exec_lo, s1
.LBB13_200:
	s_delay_alu instid0(SALU_CYCLE_1) | instskip(SKIP_3) | instid1(VALU_DEP_2)
	s_or_b32 exec_lo, exec_lo, s0
	v_dual_sub_nc_u32 v8, v2, v13 :: v_dual_lshlrev_b32 v16, 1, v13
	v_add_nc_u32_e32 v15, 0x380, v2
	v_cmp_le_i32_e32 vcc_lo, 0x380, v13
	v_dual_lshlrev_b32 v18, 1, v8 :: v_dual_sub_nc_u32 v17, v15, v13
                                        ; implicit-def: $vgpr15
	ds_load_u16 v8, v16
	ds_load_u16 v14, v18 offset:1792
	v_cmp_gt_i32_e64 s1, 0x700, v17
	s_wait_dscnt 0x0
	v_cmp_lt_u16_e64 s0, v14, v8
	s_or_b32 s0, vcc_lo, s0
	s_delay_alu instid0(SALU_CYCLE_1) | instskip(NEXT) | instid1(SALU_CYCLE_1)
	s_and_b32 vcc_lo, s1, s0
	s_xor_b32 s0, vcc_lo, -1
	s_delay_alu instid0(SALU_CYCLE_1) | instskip(NEXT) | instid1(SALU_CYCLE_1)
	s_and_saveexec_b32 s1, s0
	s_xor_b32 s0, exec_lo, s1
; %bb.201:
	ds_load_u16 v15, v16 offset:2
                                        ; implicit-def: $vgpr18
; %bb.202:
	s_or_saveexec_b32 s0, s0
	v_mov_b32_e32 v16, v14
	s_xor_b32 exec_lo, exec_lo, s0
	s_cbranch_execz .LBB13_204
; %bb.203:
	ds_load_u16 v16, v18 offset:1794
	s_wait_dscnt 0x1
	v_mov_b32_e32 v15, v8
.LBB13_204:
	s_or_b32 exec_lo, exec_lo, s0
	v_add_nc_u32_e32 v19, 1, v17
	v_add_nc_u32_e32 v18, 1, v13
	s_wait_dscnt 0x0
	v_cmp_lt_u16_e64 s1, v16, v15
	s_delay_alu instid0(VALU_DEP_2) | instskip(NEXT) | instid1(VALU_DEP_1)
	v_dual_cndmask_b32 v21, v17, v19 :: v_dual_cndmask_b32 v20, v18, v13
                                        ; implicit-def: $vgpr18
	v_cmp_gt_i32_e64 s2, 0x700, v21
	s_delay_alu instid0(VALU_DEP_2) | instskip(SKIP_1) | instid1(SALU_CYCLE_1)
	v_cmp_le_i32_e64 s0, 0x380, v20
	s_or_b32 s0, s0, s1
	s_and_b32 s0, s2, s0
	s_delay_alu instid0(SALU_CYCLE_1) | instskip(NEXT) | instid1(SALU_CYCLE_1)
	s_xor_b32 s1, s0, -1
	s_and_saveexec_b32 s2, s1
	s_delay_alu instid0(SALU_CYCLE_1)
	s_xor_b32 s1, exec_lo, s2
; %bb.205:
	v_lshlrev_b32_e32 v18, 1, v20
	ds_load_u16 v18, v18 offset:2
; %bb.206:
	s_or_saveexec_b32 s1, s1
	v_mov_b32_e32 v19, v16
	s_xor_b32 exec_lo, exec_lo, s1
	s_cbranch_execz .LBB13_208
; %bb.207:
	s_wait_dscnt 0x0
	v_lshlrev_b32_e32 v18, 1, v21
	ds_load_u16 v19, v18 offset:2
	v_mov_b32_e32 v18, v15
.LBB13_208:
	s_or_b32 exec_lo, exec_lo, s1
	v_dual_add_nc_u32 v22, 1, v20 :: v_dual_add_nc_u32 v23, 1, v21
	s_wait_dscnt 0x0
	s_delay_alu instid0(VALU_DEP_2) | instskip(NEXT) | instid1(VALU_DEP_2)
	v_cmp_lt_u16_e64 s2, v19, v18
	v_dual_cndmask_b32 v24, v22, v20, s0 :: v_dual_cndmask_b32 v25, v21, v23, s0
                                        ; implicit-def: $vgpr22
	s_delay_alu instid0(VALU_DEP_1) | instskip(NEXT) | instid1(VALU_DEP_2)
	v_cmp_le_i32_e64 s1, 0x380, v24
	v_cmp_gt_i32_e64 s3, 0x700, v25
	s_or_b32 s1, s1, s2
	s_delay_alu instid0(SALU_CYCLE_1) | instskip(NEXT) | instid1(SALU_CYCLE_1)
	s_and_b32 s1, s3, s1
	s_xor_b32 s2, s1, -1
	s_delay_alu instid0(SALU_CYCLE_1) | instskip(NEXT) | instid1(SALU_CYCLE_1)
	s_and_saveexec_b32 s3, s2
	s_xor_b32 s2, exec_lo, s3
; %bb.209:
	v_lshlrev_b32_e32 v22, 1, v24
	ds_load_u16 v22, v22 offset:2
; %bb.210:
	s_or_saveexec_b32 s2, s2
	v_mov_b32_e32 v23, v19
	s_xor_b32 exec_lo, exec_lo, s2
	s_cbranch_execz .LBB13_212
; %bb.211:
	s_wait_dscnt 0x0
	v_lshlrev_b32_e32 v22, 1, v25
	ds_load_u16 v23, v22 offset:2
	v_mov_b32_e32 v22, v18
.LBB13_212:
	s_or_b32 exec_lo, exec_lo, s2
	v_dual_add_nc_u32 v26, 1, v24 :: v_dual_add_nc_u32 v27, 1, v25
	s_wait_dscnt 0x0
	s_delay_alu instid0(VALU_DEP_2) | instskip(NEXT) | instid1(VALU_DEP_2)
	v_cmp_lt_u16_e64 s3, v23, v22
	v_dual_cndmask_b32 v28, v26, v24, s1 :: v_dual_cndmask_b32 v29, v25, v27, s1
                                        ; implicit-def: $vgpr26
	s_delay_alu instid0(VALU_DEP_1) | instskip(NEXT) | instid1(VALU_DEP_2)
	v_cmp_le_i32_e64 s2, 0x380, v28
	v_cmp_gt_i32_e64 s4, 0x700, v29
	s_or_b32 s2, s2, s3
	s_delay_alu instid0(SALU_CYCLE_1) | instskip(NEXT) | instid1(SALU_CYCLE_1)
	s_and_b32 s2, s4, s2
	s_xor_b32 s3, s2, -1
	s_delay_alu instid0(SALU_CYCLE_1) | instskip(NEXT) | instid1(SALU_CYCLE_1)
	s_and_saveexec_b32 s4, s3
	s_xor_b32 s3, exec_lo, s4
; %bb.213:
	v_lshlrev_b32_e32 v26, 1, v28
	ds_load_u16 v26, v26 offset:2
; %bb.214:
	s_or_saveexec_b32 s3, s3
	v_mov_b32_e32 v27, v23
	s_xor_b32 exec_lo, exec_lo, s3
	s_cbranch_execz .LBB13_216
; %bb.215:
	s_wait_dscnt 0x0
	v_lshlrev_b32_e32 v26, 1, v29
	ds_load_u16 v27, v26 offset:2
	v_mov_b32_e32 v26, v22
.LBB13_216:
	s_or_b32 exec_lo, exec_lo, s3
	v_dual_add_nc_u32 v30, 1, v28 :: v_dual_add_nc_u32 v31, 1, v29
	s_wait_dscnt 0x0
	s_delay_alu instid0(VALU_DEP_2) | instskip(NEXT) | instid1(VALU_DEP_2)
	v_cmp_lt_u16_e64 s4, v27, v26
                                        ; implicit-def: $vgpr38
	v_dual_cndmask_b32 v32, v30, v28, s2 :: v_dual_cndmask_b32 v33, v29, v31, s2
	s_delay_alu instid0(VALU_DEP_1) | instskip(NEXT) | instid1(VALU_DEP_2)
	v_cmp_le_i32_e64 s3, 0x380, v32
	v_cmp_gt_i32_e64 s5, 0x700, v33
	s_or_b32 s3, s3, s4
	s_delay_alu instid0(SALU_CYCLE_1) | instskip(NEXT) | instid1(SALU_CYCLE_1)
	s_and_b32 s3, s5, s3
	s_xor_b32 s4, s3, -1
	s_delay_alu instid0(SALU_CYCLE_1) | instskip(NEXT) | instid1(SALU_CYCLE_1)
	s_and_saveexec_b32 s5, s4
	s_xor_b32 s4, exec_lo, s5
; %bb.217:
	v_lshlrev_b32_e32 v30, 1, v32
	ds_load_u16 v38, v30 offset:2
; %bb.218:
	s_or_saveexec_b32 s4, s4
	v_mov_b32_e32 v30, v27
	s_xor_b32 exec_lo, exec_lo, s4
	s_cbranch_execz .LBB13_220
; %bb.219:
	s_wait_dscnt 0x0
	v_dual_lshlrev_b32 v30, 1, v33 :: v_dual_mov_b32 v38, v26
	ds_load_u16 v30, v30 offset:2
.LBB13_220:
	s_or_b32 exec_lo, exec_lo, s4
	v_dual_add_nc_u32 v31, 1, v32 :: v_dual_add_nc_u32 v34, 1, v33
	s_wait_dscnt 0x0
	v_cmp_ge_u16_e64 s5, v30, v38
                                        ; implicit-def: $vgpr36
                                        ; implicit-def: $vgpr35
	s_delay_alu instid0(VALU_DEP_2) | instskip(NEXT) | instid1(VALU_DEP_1)
	v_dual_cndmask_b32 v39, v31, v32, s3 :: v_dual_cndmask_b32 v31, v33, v34, s3
	v_cmp_gt_i32_e64 s4, 0x380, v39
	s_delay_alu instid0(VALU_DEP_2) | instskip(SKIP_1) | instid1(SALU_CYCLE_1)
	v_cmp_lt_i32_e64 s6, 0x6ff, v31
	s_and_b32 s4, s4, s5
	s_or_b32 s4, s6, s4
	s_delay_alu instid0(SALU_CYCLE_1) | instskip(NEXT) | instid1(SALU_CYCLE_1)
	s_and_saveexec_b32 s5, s4
	s_xor_b32 s4, exec_lo, s5
; %bb.221:
	v_dual_lshlrev_b32 v34, 1, v39 :: v_dual_add_nc_u32 v35, 1, v39
	ds_load_u16 v36, v34 offset:2
; %bb.222:
	s_or_saveexec_b32 s4, s4
	v_dual_mov_b32 v34, v38 :: v_dual_mov_b32 v37, v39
	s_xor_b32 exec_lo, exec_lo, s4
	s_cbranch_execz .LBB13_224
; %bb.223:
	s_wait_dscnt 0x0
	v_dual_lshlrev_b32 v34, 1, v31 :: v_dual_add_nc_u32 v36, 1, v31
	v_dual_mov_b32 v35, v39 :: v_dual_mov_b32 v37, v31
	ds_load_u16 v40, v34 offset:2
	v_dual_mov_b32 v34, v30 :: v_dual_mov_b32 v31, v36
	s_wait_dscnt 0x0
	v_dual_mov_b32 v36, v38 :: v_dual_mov_b32 v30, v40
.LBB13_224:
	s_or_b32 exec_lo, exec_lo, s4
	v_cmp_le_i32_e64 s4, 0x380, v35
	s_wait_dscnt 0x0
	s_delay_alu instid0(VALU_DEP_2)
	v_cmp_lt_u16_e64 s5, v30, v36
	v_cmp_gt_i32_e64 s6, 0x700, v31
	v_dual_cndmask_b32 v20, v20, v21, s0 :: v_dual_cndmask_b32 v15, v15, v16, s0
	v_cndmask_b32_e64 v28, v28, v29, s2
	s_or_b32 s4, s4, s5
	v_cndmask_b32_e64 v24, v24, v25, s1
	s_and_b32 s4, s6, s4
	v_cndmask_b32_e32 v13, v13, v17, vcc_lo
	v_cndmask_b32_e64 v32, v32, v33, s3
	s_barrier_signal -1
	s_barrier_wait -1
	ds_store_b8 v2, v0
	ds_store_b8 v2, v3 offset:1
	ds_store_b8 v2, v9 offset:2
	;; [unrolled: 1-line block ×6, first 2 shown]
	s_wait_dscnt 0x0
	s_barrier_signal -1
	s_barrier_wait -1
	v_dual_cndmask_b32 v11, v36, v30, s4 :: v_dual_cndmask_b32 v17, v18, v19, s1
	ds_load_u8 v0, v20
	ds_load_u8 v3, v37
	;; [unrolled: 1-line block ×5, first 2 shown]
	v_cndmask_b32_e64 v1, v35, v31, s4
	ds_load_u8 v12, v32
	ds_load_u8 v13, v1
	v_dual_cndmask_b32 v1, v22, v23, s2 :: v_dual_cndmask_b32 v8, v8, v14, vcc_lo
	v_cndmask_b32_e64 v14, v26, v27, s3
	s_delay_alu instid0(VALU_DEP_2)
	v_perm_b32 v1, v1, v17, 0x5040100
	s_wait_dscnt 0x4
	v_perm_b32 v16, v2, v0, 0xc0c0004
	v_perm_b32 v0, v15, v8, 0x5040100
	s_wait_dscnt 0x2
	v_perm_b32 v9, v10, v9, 0xc0c0004
	;; [unrolled: 3-line block ×3, first 2 shown]
	s_delay_alu instid0(VALU_DEP_3)
	v_lshl_or_b32 v8, v9, 16, v16
	s_clause 0x1
	global_store_b16 v[6:7], v11, off offset:12
	global_store_b96 v[6:7], v[0:2], off
	s_wait_dscnt 0x0
	s_clause 0x2
	global_store_b8 v[4:5], v13, off offset:6
	global_store_b16 v[4:5], v3, off offset:4
	global_store_b32 v[4:5], v8, off
	s_endpgm
	.section	.rodata,"a",@progbits
	.p2align	6, 0x0
	.amdhsa_kernel _Z21sort_key_value_kernelILj256ELj7EtcN10test_utils4lessEEvPT1_PT2_T3_
		.amdhsa_group_segment_fixed_size 3586
		.amdhsa_private_segment_fixed_size 0
		.amdhsa_kernarg_size 20
		.amdhsa_user_sgpr_count 2
		.amdhsa_user_sgpr_dispatch_ptr 0
		.amdhsa_user_sgpr_queue_ptr 0
		.amdhsa_user_sgpr_kernarg_segment_ptr 1
		.amdhsa_user_sgpr_dispatch_id 0
		.amdhsa_user_sgpr_kernarg_preload_length 0
		.amdhsa_user_sgpr_kernarg_preload_offset 0
		.amdhsa_user_sgpr_private_segment_size 0
		.amdhsa_wavefront_size32 1
		.amdhsa_uses_dynamic_stack 0
		.amdhsa_enable_private_segment 0
		.amdhsa_system_sgpr_workgroup_id_x 1
		.amdhsa_system_sgpr_workgroup_id_y 0
		.amdhsa_system_sgpr_workgroup_id_z 0
		.amdhsa_system_sgpr_workgroup_info 0
		.amdhsa_system_vgpr_workitem_id 0
		.amdhsa_next_free_vgpr 44
		.amdhsa_next_free_sgpr 28
		.amdhsa_named_barrier_count 0
		.amdhsa_reserve_vcc 1
		.amdhsa_float_round_mode_32 0
		.amdhsa_float_round_mode_16_64 0
		.amdhsa_float_denorm_mode_32 3
		.amdhsa_float_denorm_mode_16_64 3
		.amdhsa_fp16_overflow 0
		.amdhsa_memory_ordered 1
		.amdhsa_forward_progress 1
		.amdhsa_inst_pref_size 109
		.amdhsa_round_robin_scheduling 0
		.amdhsa_exception_fp_ieee_invalid_op 0
		.amdhsa_exception_fp_denorm_src 0
		.amdhsa_exception_fp_ieee_div_zero 0
		.amdhsa_exception_fp_ieee_overflow 0
		.amdhsa_exception_fp_ieee_underflow 0
		.amdhsa_exception_fp_ieee_inexact 0
		.amdhsa_exception_int_div_zero 0
	.end_amdhsa_kernel
	.section	.text._Z21sort_key_value_kernelILj256ELj7EtcN10test_utils4lessEEvPT1_PT2_T3_,"axG",@progbits,_Z21sort_key_value_kernelILj256ELj7EtcN10test_utils4lessEEvPT1_PT2_T3_,comdat
.Lfunc_end13:
	.size	_Z21sort_key_value_kernelILj256ELj7EtcN10test_utils4lessEEvPT1_PT2_T3_, .Lfunc_end13-_Z21sort_key_value_kernelILj256ELj7EtcN10test_utils4lessEEvPT1_PT2_T3_
                                        ; -- End function
	.set _Z21sort_key_value_kernelILj256ELj7EtcN10test_utils4lessEEvPT1_PT2_T3_.num_vgpr, 44
	.set _Z21sort_key_value_kernelILj256ELj7EtcN10test_utils4lessEEvPT1_PT2_T3_.num_agpr, 0
	.set _Z21sort_key_value_kernelILj256ELj7EtcN10test_utils4lessEEvPT1_PT2_T3_.numbered_sgpr, 28
	.set _Z21sort_key_value_kernelILj256ELj7EtcN10test_utils4lessEEvPT1_PT2_T3_.num_named_barrier, 0
	.set _Z21sort_key_value_kernelILj256ELj7EtcN10test_utils4lessEEvPT1_PT2_T3_.private_seg_size, 0
	.set _Z21sort_key_value_kernelILj256ELj7EtcN10test_utils4lessEEvPT1_PT2_T3_.uses_vcc, 1
	.set _Z21sort_key_value_kernelILj256ELj7EtcN10test_utils4lessEEvPT1_PT2_T3_.uses_flat_scratch, 0
	.set _Z21sort_key_value_kernelILj256ELj7EtcN10test_utils4lessEEvPT1_PT2_T3_.has_dyn_sized_stack, 0
	.set _Z21sort_key_value_kernelILj256ELj7EtcN10test_utils4lessEEvPT1_PT2_T3_.has_recursion, 0
	.set _Z21sort_key_value_kernelILj256ELj7EtcN10test_utils4lessEEvPT1_PT2_T3_.has_indirect_call, 0
	.section	.AMDGPU.csdata,"",@progbits
; Kernel info:
; codeLenInByte = 13852
; TotalNumSgprs: 30
; NumVgprs: 44
; ScratchSize: 0
; MemoryBound: 0
; FloatMode: 240
; IeeeMode: 1
; LDSByteSize: 3586 bytes/workgroup (compile time only)
; SGPRBlocks: 0
; VGPRBlocks: 2
; NumSGPRsForWavesPerEU: 30
; NumVGPRsForWavesPerEU: 44
; NamedBarCnt: 0
; Occupancy: 16
; WaveLimiterHint : 0
; COMPUTE_PGM_RSRC2:SCRATCH_EN: 0
; COMPUTE_PGM_RSRC2:USER_SGPR: 2
; COMPUTE_PGM_RSRC2:TRAP_HANDLER: 0
; COMPUTE_PGM_RSRC2:TGID_X_EN: 1
; COMPUTE_PGM_RSRC2:TGID_Y_EN: 0
; COMPUTE_PGM_RSRC2:TGID_Z_EN: 0
; COMPUTE_PGM_RSRC2:TIDIG_COMP_CNT: 0
	.section	.text._Z21sort_key_value_kernelILj128ELj4EisN10test_utils4lessEEvPT1_PT2_T3_,"axG",@progbits,_Z21sort_key_value_kernelILj128ELj4EisN10test_utils4lessEEvPT1_PT2_T3_,comdat
	.protected	_Z21sort_key_value_kernelILj128ELj4EisN10test_utils4lessEEvPT1_PT2_T3_ ; -- Begin function _Z21sort_key_value_kernelILj128ELj4EisN10test_utils4lessEEvPT1_PT2_T3_
	.globl	_Z21sort_key_value_kernelILj128ELj4EisN10test_utils4lessEEvPT1_PT2_T3_
	.p2align	8
	.type	_Z21sort_key_value_kernelILj128ELj4EisN10test_utils4lessEEvPT1_PT2_T3_,@function
_Z21sort_key_value_kernelILj128ELj4EisN10test_utils4lessEEvPT1_PT2_T3_: ; @_Z21sort_key_value_kernelILj128ELj4EisN10test_utils4lessEEvPT1_PT2_T3_
; %bb.0:
	s_load_b128 s[0:3], s[0:1], 0x0
	s_bfe_u32 s4, ttmp6, 0x4000c
	s_and_b32 s5, ttmp6, 15
	s_add_co_i32 s4, s4, 1
	s_getreg_b32 s6, hwreg(HW_REG_IB_STS2, 6, 4)
	s_mul_i32 s4, ttmp9, s4
	s_delay_alu instid0(SALU_CYCLE_1) | instskip(SKIP_4) | instid1(SALU_CYCLE_1)
	s_add_co_i32 s5, s5, s4
	s_cmp_eq_u32 s6, 0
	s_cselect_b32 s4, ttmp9, s5
	s_mov_b32 s5, 0
	s_lshl_b32 s4, s4, 9
	s_lshl_b64 s[6:7], s[4:5], 2
	s_lshl_b64 s[8:9], s[4:5], 1
	s_wait_kmcnt 0x0
	s_add_nc_u64 s[4:5], s[0:1], s[6:7]
	s_add_nc_u64 s[6:7], s[2:3], s[8:9]
	s_clause 0x1
	global_load_b128 v[4:7], v0, s[4:5] scale_offset
	global_load_b64 v[14:15], v0, s[6:7] scale_offset
	s_mov_b32 s1, exec_lo
	s_wait_loadcnt 0x1
	v_cmp_lt_i32_e32 vcc_lo, v5, v4
	s_wait_loadcnt 0x0
	v_alignbit_b32 v8, v14, v14, 16
	v_dual_mov_b32 v1, v7 :: v_dual_cndmask_b32 v3, v5, v4, vcc_lo
	s_delay_alu instid0(VALU_DEP_2)
	v_dual_cndmask_b32 v2, v4, v5, vcc_lo :: v_dual_cndmask_b32 v14, v14, v8, vcc_lo
	v_mov_b32_e32 v4, v6
	v_cmpx_lt_i32_e64 v7, v6
; %bb.1:
	v_dual_mov_b32 v5, v6 :: v_dual_mov_b32 v1, v6
	v_alignbit_b32 v15, v15, v15, 16
	v_dual_mov_b32 v6, v7 :: v_dual_mov_b32 v4, v7
	s_delay_alu instid0(VALU_DEP_3)
	v_mov_b32_e32 v7, v5
; %bb.2:
	s_or_b32 exec_lo, exec_lo, s1
	s_delay_alu instid0(VALU_DEP_1) | instskip(SKIP_3) | instid1(VALU_DEP_3)
	v_dual_mov_b32 v5, v7 :: v_dual_lshlrev_b32 v16, 4, v0
	v_dual_mov_b32 v17, 0 :: v_dual_lshlrev_b32 v12, 3, v0
	v_lshlrev_b32_e32 v0, 2, v0
	s_mov_b32 s0, exec_lo
	v_mov_b64_e32 v[10:11], v[4:5]
	v_mov_b64_e32 v[8:9], v[2:3]
	v_mov_b32_e32 v4, v6
	v_cmpx_lt_i32_e64 v6, v3
	s_xor_b32 s0, exec_lo, s0
	s_cbranch_execz .LBB14_4
; %bb.3:
	v_perm_b32 v5, v15, v14, 0x5040100
	v_perm_b32 v15, v15, v14, 0x7060302
	s_delay_alu instid0(VALU_DEP_2)
	v_mov_b64_e32 v[10:11], v[4:5]
	v_mov_b64_e32 v[8:9], v[2:3]
	v_dual_mov_b32 v9, v6 :: v_dual_mov_b32 v10, v3
	v_dual_mov_b32 v11, v7 :: v_dual_mov_b32 v4, v3
	;; [unrolled: 1-line block ×3, first 2 shown]
.LBB14_4:
	s_or_b32 exec_lo, exec_lo, s0
	s_delay_alu instid0(VALU_DEP_1) | instskip(NEXT) | instid1(VALU_DEP_3)
	v_cmp_lt_i32_e32 vcc_lo, v3, v2
	v_cmp_lt_i32_e64 s0, v1, v4
	v_and_b32_e32 v18, 0x1f8, v0
	v_mov_b32_e32 v13, v17
	s_mov_b32 s8, 0
	v_dual_cndmask_b32 v5, v8, v3 :: v_dual_max_i32 v6, v3, v2
	v_dual_cndmask_b32 v7, v9, v2, vcc_lo :: v_dual_cndmask_b32 v11, v11, v4, s0
	v_dual_cndmask_b32 v1, v10, v1, s0 :: v_dual_min_i32 v9, v1, v4
	v_dual_add_nc_u32 v2, 8, v18 :: v_dual_bitop2_b32 v3, 4, v18 bitop3:0x54
	v_and_b32_e32 v8, 4, v0
	s_delay_alu instid0(VALU_DEP_3) | instskip(SKIP_4) | instid1(VALU_DEP_3)
	v_cmp_lt_i32_e64 s1, v9, v6
	s_mov_b32 s3, exec_lo
	v_dual_sub_nc_u32 v10, v3, v18 :: v_dual_sub_nc_u32 v4, v2, v3
	v_dual_cndmask_b32 v6, v1, v6, s1 :: v_dual_cndmask_b32 v7, v7, v9, s1
	v_lshlrev_b32_e32 v1, 2, v0
	v_sub_nc_u32_e32 v9, v8, v4
	v_cmp_ge_i32_e64 s2, v8, v4
	s_barrier_signal -1
	v_min_i32_e32 v4, v8, v10
	v_lshlrev_b32_e32 v10, 2, v18
	s_barrier_wait -1
	v_cndmask_b32_e64 v9, 0, v9, s2
	ds_store_2addr_b32 v1, v5, v7 offset1:1
	ds_store_2addr_b32 v1, v6, v11 offset0:2 offset1:3
	s_wait_dscnt 0x0
	s_barrier_signal -1
	s_barrier_wait -1
	v_cmpx_lt_i32_e64 v9, v4
	s_cbranch_execz .LBB14_8
; %bb.5:
	v_lshlrev_b32_e32 v5, 2, v8
	s_delay_alu instid0(VALU_DEP_1)
	v_lshl_add_u32 v5, v3, 2, v5
.LBB14_6:                               ; =>This Inner Loop Header: Depth=1
	v_sub_nc_u32_e32 v6, v4, v9
	s_delay_alu instid0(VALU_DEP_1) | instskip(NEXT) | instid1(VALU_DEP_1)
	v_lshrrev_b32_e32 v6, 1, v6
	v_add_nc_u32_e32 v6, v6, v9
	s_delay_alu instid0(VALU_DEP_1) | instskip(SKIP_1) | instid1(VALU_DEP_2)
	v_not_b32_e32 v7, v6
	v_lshl_add_u32 v11, v6, 2, v10
	v_lshl_add_u32 v7, v7, 2, v5
	ds_load_b32 v11, v11
	ds_load_b32 v7, v7
	s_wait_dscnt 0x0
	v_cmp_lt_i32_e64 s2, v7, v11
	s_delay_alu instid0(VALU_DEP_1) | instskip(NEXT) | instid1(VALU_DEP_1)
	v_dual_add_nc_u32 v19, 1, v6 :: v_dual_cndmask_b32 v4, v4, v6, s2
	v_cndmask_b32_e64 v9, v19, v9, s2
	s_delay_alu instid0(VALU_DEP_1) | instskip(SKIP_1) | instid1(SALU_CYCLE_1)
	v_cmp_ge_i32_e64 s2, v9, v4
	s_or_b32 s8, s2, s8
	s_and_not1_b32 exec_lo, exec_lo, s8
	s_cbranch_execnz .LBB14_6
; %bb.7:
	s_or_b32 exec_lo, exec_lo, s8
.LBB14_8:
	s_delay_alu instid0(SALU_CYCLE_1) | instskip(SKIP_4) | instid1(VALU_DEP_4)
	s_or_b32 exec_lo, exec_lo, s3
	v_add_nc_u32_e32 v8, v3, v8
	v_lshl_add_u32 v11, v9, 2, v10
	v_add_nc_u64_e32 v[6:7], s[4:5], v[16:17]
	v_add_nc_u64_e32 v[4:5], s[6:7], v[12:13]
                                        ; implicit-def: $vgpr10
	v_dual_sub_nc_u32 v8, v8, v9 :: v_dual_add_nc_u32 v9, v9, v18
	s_delay_alu instid0(VALU_DEP_1) | instskip(NEXT) | instid1(VALU_DEP_2)
	v_lshlrev_b32_e32 v17, 2, v8
	v_cmp_le_i32_e64 s2, v3, v9
	v_cmp_gt_i32_e64 s4, v2, v8
	ds_load_b32 v13, v11
	ds_load_b32 v16, v17
	s_wait_dscnt 0x0
	v_cmp_lt_i32_e64 s3, v16, v13
	s_or_b32 s2, s2, s3
	s_delay_alu instid0(SALU_CYCLE_1) | instskip(NEXT) | instid1(SALU_CYCLE_1)
	s_and_b32 s2, s4, s2
	s_xor_b32 s3, s2, -1
	s_delay_alu instid0(SALU_CYCLE_1) | instskip(NEXT) | instid1(SALU_CYCLE_1)
	s_and_saveexec_b32 s4, s3
	s_xor_b32 s3, exec_lo, s4
; %bb.9:
	ds_load_b32 v10, v11 offset:4
                                        ; implicit-def: $vgpr17
; %bb.10:
	s_or_saveexec_b32 s3, s3
	v_mov_b32_e32 v11, v16
	s_xor_b32 exec_lo, exec_lo, s3
	s_cbranch_execz .LBB14_12
; %bb.11:
	ds_load_b32 v11, v17 offset:4
	s_wait_dscnt 0x1
	v_mov_b32_e32 v10, v13
.LBB14_12:
	s_or_b32 exec_lo, exec_lo, s3
	v_dual_add_nc_u32 v17, 1, v9 :: v_dual_add_nc_u32 v18, 1, v8
	s_wait_dscnt 0x0
	s_delay_alu instid0(VALU_DEP_2) | instskip(NEXT) | instid1(VALU_DEP_2)
	v_cmp_lt_i32_e64 s4, v11, v10
                                        ; implicit-def: $vgpr19
	v_dual_cndmask_b32 v17, v17, v9, s2 :: v_dual_cndmask_b32 v18, v8, v18, s2
	s_delay_alu instid0(VALU_DEP_1) | instskip(NEXT) | instid1(VALU_DEP_2)
	v_cmp_ge_i32_e64 s3, v17, v3
	v_cmp_lt_i32_e64 s5, v18, v2
	s_or_b32 s3, s3, s4
	s_delay_alu instid0(SALU_CYCLE_1) | instskip(NEXT) | instid1(SALU_CYCLE_1)
	s_and_b32 s3, s5, s3
	s_xor_b32 s4, s3, -1
	s_delay_alu instid0(SALU_CYCLE_1) | instskip(NEXT) | instid1(SALU_CYCLE_1)
	s_and_saveexec_b32 s5, s4
	s_xor_b32 s4, exec_lo, s5
; %bb.13:
	v_lshlrev_b32_e32 v19, 2, v17
	ds_load_b32 v19, v19 offset:4
; %bb.14:
	s_or_saveexec_b32 s4, s4
	v_mov_b32_e32 v20, v11
	s_xor_b32 exec_lo, exec_lo, s4
	s_cbranch_execz .LBB14_16
; %bb.15:
	s_wait_dscnt 0x0
	v_lshlrev_b32_e32 v19, 2, v18
	ds_load_b32 v20, v19 offset:4
	v_mov_b32_e32 v19, v10
.LBB14_16:
	s_or_b32 exec_lo, exec_lo, s4
	v_dual_add_nc_u32 v21, 1, v17 :: v_dual_add_nc_u32 v23, 1, v18
	s_wait_dscnt 0x0
	s_delay_alu instid0(VALU_DEP_2) | instskip(NEXT) | instid1(VALU_DEP_2)
	v_cmp_lt_i32_e64 s5, v20, v19
	v_dual_cndmask_b32 v22, v21, v17, s3 :: v_dual_cndmask_b32 v23, v18, v23, s3
                                        ; implicit-def: $vgpr21
	s_delay_alu instid0(VALU_DEP_1) | instskip(NEXT) | instid1(VALU_DEP_2)
	v_cmp_ge_i32_e64 s4, v22, v3
	v_cmp_lt_i32_e64 s6, v23, v2
	s_or_b32 s4, s4, s5
	s_delay_alu instid0(SALU_CYCLE_1) | instskip(NEXT) | instid1(SALU_CYCLE_1)
	s_and_b32 s4, s6, s4
	s_xor_b32 s5, s4, -1
	s_delay_alu instid0(SALU_CYCLE_1) | instskip(NEXT) | instid1(SALU_CYCLE_1)
	s_and_saveexec_b32 s6, s5
	s_xor_b32 s5, exec_lo, s6
; %bb.17:
	v_lshlrev_b32_e32 v21, 2, v22
	ds_load_b32 v21, v21 offset:4
; %bb.18:
	s_or_saveexec_b32 s5, s5
	v_mov_b32_e32 v24, v20
	s_xor_b32 exec_lo, exec_lo, s5
	s_cbranch_execz .LBB14_20
; %bb.19:
	s_wait_dscnt 0x0
	v_lshlrev_b32_e32 v21, 2, v23
	ds_load_b32 v24, v21 offset:4
	v_mov_b32_e32 v21, v19
.LBB14_20:
	s_or_b32 exec_lo, exec_lo, s5
	v_dual_add_nc_u32 v25, 1, v23 :: v_dual_add_nc_u32 v28, 1, v22
	v_alignbit_b32 v26, v14, v14, 16
	v_alignbit_b32 v27, v15, v15, 16
	v_cndmask_b32_e64 v19, v19, v20, s4
	s_delay_alu instid0(VALU_DEP_4) | instskip(NEXT) | instid1(VALU_DEP_3)
	v_dual_cndmask_b32 v20, v23, v25, s4 :: v_dual_cndmask_b32 v25, v28, v22, s4
	v_dual_cndmask_b32 v14, v14, v26, vcc_lo :: v_dual_cndmask_b32 v15, v15, v27, s0
	s_wait_dscnt 0x0
	v_cmp_lt_i32_e64 s0, v24, v21
	v_cndmask_b32_e64 v22, v22, v23, s4
	v_cmp_ge_i32_e32 vcc_lo, v25, v3
	v_dual_cndmask_b32 v23, v10, v11, s3 :: v_dual_cndmask_b32 v10, v17, v18, s3
	v_perm_b32 v11, v15, v14, 0x7060302
	v_perm_b32 v3, v15, v14, 0x5040100
	v_cmp_lt_i32_e64 s3, v20, v2
	s_or_b32 s0, vcc_lo, s0
	v_dual_cndmask_b32 v2, v9, v8, s2 :: v_dual_cndmask_b32 v8, v15, v11, s1
	v_and_b32_e32 v17, 0x1f0, v0
	s_and_b32 vcc_lo, s3, s0
	s_delay_alu instid0(SALU_CYCLE_1)
	v_dual_cndmask_b32 v3, v14, v3, s1 :: v_dual_cndmask_b32 v18, v21, v24, vcc_lo
	v_sub_nc_u32_e32 v11, v1, v12
	v_dual_cndmask_b32 v9, v25, v20 :: v_dual_lshlrev_b32 v2, 1, v2
	s_barrier_signal -1
	s_barrier_wait -1
	ds_store_2addr_b32 v11, v3, v8 offset1:1
	v_dual_add_nc_u32 v3, 16, v17 :: v_dual_lshlrev_b32 v10, 1, v10
	v_dual_lshlrev_b32 v11, 1, v22 :: v_dual_lshlrev_b32 v15, 1, v9
	s_wait_dscnt 0x0
	s_barrier_signal -1
	s_barrier_wait -1
	ds_load_u16 v2, v2
	ds_load_u16 v9, v10
	;; [unrolled: 1-line block ×4, first 2 shown]
	v_or_b32_e32 v8, 8, v17
	v_and_b32_e32 v14, 12, v0
	s_wait_dscnt 0x0
	s_barrier_signal -1
	s_barrier_wait -1
	v_dual_sub_nc_u32 v20, v3, v8 :: v_dual_sub_nc_u32 v21, v8, v17
	v_cndmask_b32_e64 v13, v13, v16, s2
	s_mov_b32 s0, 0
	s_delay_alu instid0(VALU_DEP_2) | instskip(SKIP_2) | instid1(VALU_DEP_2)
	v_sub_nc_u32_e32 v15, v14, v20
	v_cmp_ge_i32_e32 vcc_lo, v14, v20
	s_mov_b32 s1, exec_lo
	v_dual_cndmask_b32 v16, 0, v15 :: v_dual_min_i32 v15, v14, v21
	ds_store_2addr_b32 v1, v13, v23 offset1:1
	ds_store_2addr_b32 v1, v19, v18 offset0:2 offset1:3
	v_lshlrev_b32_e32 v13, 2, v17
	s_wait_dscnt 0x0
	s_barrier_signal -1
	s_barrier_wait -1
	v_cmpx_lt_i32_e64 v16, v15
	s_cbranch_execz .LBB14_24
; %bb.21:
	v_lshlrev_b32_e32 v18, 2, v14
	s_delay_alu instid0(VALU_DEP_1)
	v_lshl_add_u32 v18, v8, 2, v18
.LBB14_22:                              ; =>This Inner Loop Header: Depth=1
	v_sub_nc_u32_e32 v19, v15, v16
	s_delay_alu instid0(VALU_DEP_1) | instskip(NEXT) | instid1(VALU_DEP_1)
	v_lshrrev_b32_e32 v19, 1, v19
	v_add_nc_u32_e32 v19, v19, v16
	s_delay_alu instid0(VALU_DEP_1) | instskip(SKIP_1) | instid1(VALU_DEP_2)
	v_not_b32_e32 v20, v19
	v_lshl_add_u32 v21, v19, 2, v13
	v_lshl_add_u32 v20, v20, 2, v18
	ds_load_b32 v21, v21
	ds_load_b32 v20, v20
	s_wait_dscnt 0x0
	v_cmp_lt_i32_e32 vcc_lo, v20, v21
	v_dual_cndmask_b32 v15, v15, v19 :: v_dual_add_nc_u32 v22, 1, v19
	s_delay_alu instid0(VALU_DEP_1) | instskip(NEXT) | instid1(VALU_DEP_1)
	v_cndmask_b32_e32 v16, v22, v16, vcc_lo
	v_cmp_ge_i32_e32 vcc_lo, v16, v15
	s_or_b32 s0, vcc_lo, s0
	s_delay_alu instid0(SALU_CYCLE_1)
	s_and_not1_b32 exec_lo, exec_lo, s0
	s_cbranch_execnz .LBB14_22
; %bb.23:
	s_or_b32 exec_lo, exec_lo, s0
.LBB14_24:
	s_delay_alu instid0(SALU_CYCLE_1) | instskip(SKIP_2) | instid1(VALU_DEP_2)
	s_or_b32 exec_lo, exec_lo, s1
	v_dual_sub_nc_u32 v12, 0, v12 :: v_dual_add_nc_u32 v14, v8, v14
	v_lshl_add_u32 v18, v16, 2, v13
	v_dual_sub_nc_u32 v15, v14, v16 :: v_dual_add_nc_u32 v16, v16, v17
                                        ; implicit-def: $vgpr17
	s_delay_alu instid0(VALU_DEP_1) | instskip(NEXT) | instid1(VALU_DEP_2)
	v_lshlrev_b32_e32 v19, 2, v15
	v_cmp_le_i32_e32 vcc_lo, v8, v16
	v_cmp_gt_i32_e64 s1, v3, v15
	ds_load_b32 v13, v18
	ds_load_b32 v14, v19
	s_wait_dscnt 0x0
	v_cmp_lt_i32_e64 s0, v14, v13
	s_or_b32 s0, vcc_lo, s0
	s_delay_alu instid0(SALU_CYCLE_1) | instskip(NEXT) | instid1(SALU_CYCLE_1)
	s_and_b32 vcc_lo, s1, s0
	s_xor_b32 s0, vcc_lo, -1
	s_delay_alu instid0(SALU_CYCLE_1) | instskip(NEXT) | instid1(SALU_CYCLE_1)
	s_and_saveexec_b32 s1, s0
	s_xor_b32 s0, exec_lo, s1
; %bb.25:
	ds_load_b32 v17, v18 offset:4
                                        ; implicit-def: $vgpr19
; %bb.26:
	s_or_saveexec_b32 s0, s0
	v_mov_b32_e32 v18, v14
	s_xor_b32 exec_lo, exec_lo, s0
	s_cbranch_execz .LBB14_28
; %bb.27:
	ds_load_b32 v18, v19 offset:4
	s_wait_dscnt 0x1
	v_mov_b32_e32 v17, v13
.LBB14_28:
	s_or_b32 exec_lo, exec_lo, s0
	v_dual_add_nc_u32 v19, 1, v16 :: v_dual_add_nc_u32 v20, 1, v15
	s_wait_dscnt 0x0
	s_delay_alu instid0(VALU_DEP_2) | instskip(NEXT) | instid1(VALU_DEP_2)
	v_cmp_lt_i32_e64 s1, v18, v17
                                        ; implicit-def: $vgpr21
	v_cndmask_b32_e32 v19, v19, v16, vcc_lo
	s_delay_alu instid0(VALU_DEP_3) | instskip(NEXT) | instid1(VALU_DEP_2)
	v_cndmask_b32_e32 v20, v15, v20, vcc_lo
	v_cmp_ge_i32_e64 s0, v19, v8
	s_delay_alu instid0(VALU_DEP_2) | instskip(SKIP_1) | instid1(SALU_CYCLE_1)
	v_cmp_lt_i32_e64 s2, v20, v3
	s_or_b32 s0, s0, s1
	s_and_b32 s0, s2, s0
	s_delay_alu instid0(SALU_CYCLE_1) | instskip(NEXT) | instid1(SALU_CYCLE_1)
	s_xor_b32 s1, s0, -1
	s_and_saveexec_b32 s2, s1
	s_delay_alu instid0(SALU_CYCLE_1)
	s_xor_b32 s1, exec_lo, s2
; %bb.29:
	v_lshlrev_b32_e32 v21, 2, v19
	ds_load_b32 v21, v21 offset:4
; %bb.30:
	s_or_saveexec_b32 s1, s1
	v_mov_b32_e32 v22, v18
	s_xor_b32 exec_lo, exec_lo, s1
	s_cbranch_execz .LBB14_32
; %bb.31:
	s_wait_dscnt 0x0
	v_lshlrev_b32_e32 v21, 2, v20
	ds_load_b32 v22, v21 offset:4
	v_mov_b32_e32 v21, v17
.LBB14_32:
	s_or_b32 exec_lo, exec_lo, s1
	v_dual_add_nc_u32 v23, 1, v19 :: v_dual_add_nc_u32 v24, 1, v20
	s_wait_dscnt 0x0
	s_delay_alu instid0(VALU_DEP_2) | instskip(NEXT) | instid1(VALU_DEP_2)
	v_cmp_lt_i32_e64 s2, v22, v21
	v_dual_cndmask_b32 v25, v23, v19, s0 :: v_dual_cndmask_b32 v24, v20, v24, s0
                                        ; implicit-def: $vgpr23
	s_delay_alu instid0(VALU_DEP_1) | instskip(NEXT) | instid1(VALU_DEP_2)
	v_cmp_ge_i32_e64 s1, v25, v8
	v_cmp_lt_i32_e64 s3, v24, v3
	s_or_b32 s1, s1, s2
	s_delay_alu instid0(SALU_CYCLE_1) | instskip(NEXT) | instid1(SALU_CYCLE_1)
	s_and_b32 s1, s3, s1
	s_xor_b32 s2, s1, -1
	s_delay_alu instid0(SALU_CYCLE_1) | instskip(NEXT) | instid1(SALU_CYCLE_1)
	s_and_saveexec_b32 s3, s2
	s_xor_b32 s2, exec_lo, s3
; %bb.33:
	v_lshlrev_b32_e32 v23, 2, v25
	ds_load_b32 v23, v23 offset:4
; %bb.34:
	s_or_saveexec_b32 s2, s2
	v_mov_b32_e32 v26, v22
	s_xor_b32 exec_lo, exec_lo, s2
	s_cbranch_execz .LBB14_36
; %bb.35:
	s_wait_dscnt 0x0
	v_lshlrev_b32_e32 v23, 2, v24
	ds_load_b32 v26, v23 offset:4
	v_mov_b32_e32 v23, v21
.LBB14_36:
	s_or_b32 exec_lo, exec_lo, s2
	v_dual_add_nc_u32 v27, 1, v25 :: v_dual_cndmask_b32 v21, v21, v22, s1
	v_dual_add_nc_u32 v22, 1, v24 :: v_dual_cndmask_b32 v28, v25, v24, s1
	s_delay_alu instid0(VALU_DEP_2) | instskip(NEXT) | instid1(VALU_DEP_2)
	v_dual_cndmask_b32 v18, v17, v18, s0 :: v_dual_cndmask_b32 v17, v27, v25, s1
	v_dual_cndmask_b32 v19, v19, v20, s0 :: v_dual_cndmask_b32 v20, v24, v22, s1
	s_wait_dscnt 0x0
	v_cmp_lt_i32_e64 s0, v26, v23
	v_cndmask_b32_e32 v15, v16, v15, vcc_lo
	v_cmp_ge_i32_e64 s1, v17, v8
	v_add_nc_u32_e32 v8, v1, v12
	v_cmp_lt_i32_e64 s2, v20, v3
	v_perm_b32 v3, v11, v10, 0x5040100
	v_perm_b32 v2, v9, v2, 0x5040100
	s_or_b32 s0, s1, s0
	v_and_b32_e32 v16, 0x1e0, v0
	s_and_b32 s0, s2, s0
	s_delay_alu instid0(SALU_CYCLE_1)
	v_dual_cndmask_b32 v22, v23, v26, s0 :: v_dual_cndmask_b32 v9, v17, v20, s0
	s_barrier_signal -1
	s_barrier_wait -1
	ds_store_2addr_b32 v8, v2, v3 offset1:1
	v_dual_lshlrev_b32 v3, 1, v15 :: v_dual_bitop2_b32 v11, 16, v16 bitop3:0x54
	v_dual_add_nc_u32 v2, 32, v16 :: v_dual_lshlrev_b32 v10, 1, v19
	v_dual_lshlrev_b32 v12, 1, v28 :: v_dual_lshlrev_b32 v17, 1, v9
	s_wait_dscnt 0x0
	s_barrier_signal -1
	s_barrier_wait -1
	ds_load_u16 v3, v3
	ds_load_u16 v9, v10
	;; [unrolled: 1-line block ×4, first 2 shown]
	v_dual_sub_nc_u32 v19, v2, v11 :: v_dual_bitop2_b32 v15, 28, v0 bitop3:0x40
	v_cndmask_b32_e32 v13, v13, v14, vcc_lo
	s_wait_dscnt 0x0
	s_barrier_signal -1
	s_barrier_wait -1
	v_sub_nc_u32_e32 v14, v15, v19
	v_cmp_ge_i32_e32 vcc_lo, v15, v19
	v_sub_nc_u32_e32 v20, v11, v16
	ds_store_2addr_b32 v1, v13, v18 offset1:1
	ds_store_2addr_b32 v1, v21, v22 offset0:2 offset1:3
	v_dual_lshlrev_b32 v13, 2, v16 :: v_dual_cndmask_b32 v17, 0, v14, vcc_lo
	v_min_i32_e32 v14, v15, v20
	s_mov_b32 s1, 0
	s_mov_b32 s0, exec_lo
	s_wait_dscnt 0x0
	s_barrier_signal -1
	s_barrier_wait -1
	v_cmpx_lt_i32_e64 v17, v14
	s_cbranch_execz .LBB14_40
; %bb.37:
	v_lshlrev_b32_e32 v18, 2, v15
	s_delay_alu instid0(VALU_DEP_1)
	v_lshl_add_u32 v18, v11, 2, v18
.LBB14_38:                              ; =>This Inner Loop Header: Depth=1
	v_sub_nc_u32_e32 v19, v14, v17
	s_delay_alu instid0(VALU_DEP_1) | instskip(NEXT) | instid1(VALU_DEP_1)
	v_lshrrev_b32_e32 v19, 1, v19
	v_add_nc_u32_e32 v19, v19, v17
	s_delay_alu instid0(VALU_DEP_1) | instskip(SKIP_1) | instid1(VALU_DEP_2)
	v_not_b32_e32 v20, v19
	v_lshl_add_u32 v21, v19, 2, v13
	v_lshl_add_u32 v20, v20, 2, v18
	ds_load_b32 v21, v21
	ds_load_b32 v20, v20
	s_wait_dscnt 0x0
	v_cmp_lt_i32_e32 vcc_lo, v20, v21
	v_dual_add_nc_u32 v22, 1, v19 :: v_dual_cndmask_b32 v14, v14, v19, vcc_lo
	s_delay_alu instid0(VALU_DEP_1) | instskip(NEXT) | instid1(VALU_DEP_1)
	v_cndmask_b32_e32 v17, v22, v17, vcc_lo
	v_cmp_ge_i32_e32 vcc_lo, v17, v14
	s_or_b32 s1, vcc_lo, s1
	s_delay_alu instid0(SALU_CYCLE_1)
	s_and_not1_b32 exec_lo, exec_lo, s1
	s_cbranch_execnz .LBB14_38
; %bb.39:
	s_or_b32 exec_lo, exec_lo, s1
.LBB14_40:
	s_delay_alu instid0(SALU_CYCLE_1) | instskip(SKIP_2) | instid1(VALU_DEP_2)
	s_or_b32 exec_lo, exec_lo, s0
	v_add_nc_u32_e32 v14, v11, v15
	v_lshl_add_u32 v18, v17, 2, v13
	v_dual_add_nc_u32 v16, v17, v16 :: v_dual_sub_nc_u32 v15, v14, v17
                                        ; implicit-def: $vgpr17
	s_delay_alu instid0(VALU_DEP_1) | instskip(NEXT) | instid1(VALU_DEP_2)
	v_cmp_le_i32_e32 vcc_lo, v11, v16
	v_lshlrev_b32_e32 v19, 2, v15
	v_cmp_gt_i32_e64 s1, v2, v15
	ds_load_b32 v13, v18
	ds_load_b32 v14, v19
	s_wait_dscnt 0x0
	v_cmp_lt_i32_e64 s0, v14, v13
	s_or_b32 s0, vcc_lo, s0
	s_delay_alu instid0(SALU_CYCLE_1) | instskip(NEXT) | instid1(SALU_CYCLE_1)
	s_and_b32 vcc_lo, s1, s0
	s_xor_b32 s0, vcc_lo, -1
	s_delay_alu instid0(SALU_CYCLE_1) | instskip(NEXT) | instid1(SALU_CYCLE_1)
	s_and_saveexec_b32 s1, s0
	s_xor_b32 s0, exec_lo, s1
; %bb.41:
	ds_load_b32 v17, v18 offset:4
                                        ; implicit-def: $vgpr19
; %bb.42:
	s_or_saveexec_b32 s0, s0
	v_mov_b32_e32 v18, v14
	s_xor_b32 exec_lo, exec_lo, s0
	s_cbranch_execz .LBB14_44
; %bb.43:
	ds_load_b32 v18, v19 offset:4
	s_wait_dscnt 0x1
	v_mov_b32_e32 v17, v13
.LBB14_44:
	s_or_b32 exec_lo, exec_lo, s0
	v_dual_add_nc_u32 v19, 1, v16 :: v_dual_add_nc_u32 v20, 1, v15
	s_wait_dscnt 0x0
	s_delay_alu instid0(VALU_DEP_2) | instskip(NEXT) | instid1(VALU_DEP_2)
	v_cmp_lt_i32_e64 s1, v18, v17
                                        ; implicit-def: $vgpr21
	v_cndmask_b32_e32 v19, v19, v16, vcc_lo
	s_delay_alu instid0(VALU_DEP_3) | instskip(NEXT) | instid1(VALU_DEP_2)
	v_cndmask_b32_e32 v20, v15, v20, vcc_lo
	v_cmp_ge_i32_e64 s0, v19, v11
	s_delay_alu instid0(VALU_DEP_2) | instskip(SKIP_1) | instid1(SALU_CYCLE_1)
	v_cmp_lt_i32_e64 s2, v20, v2
	s_or_b32 s0, s0, s1
	s_and_b32 s0, s2, s0
	s_delay_alu instid0(SALU_CYCLE_1) | instskip(NEXT) | instid1(SALU_CYCLE_1)
	s_xor_b32 s1, s0, -1
	s_and_saveexec_b32 s2, s1
	s_delay_alu instid0(SALU_CYCLE_1)
	s_xor_b32 s1, exec_lo, s2
; %bb.45:
	v_lshlrev_b32_e32 v21, 2, v19
	ds_load_b32 v21, v21 offset:4
; %bb.46:
	s_or_saveexec_b32 s1, s1
	v_mov_b32_e32 v22, v18
	s_xor_b32 exec_lo, exec_lo, s1
	s_cbranch_execz .LBB14_48
; %bb.47:
	s_wait_dscnt 0x0
	v_lshlrev_b32_e32 v21, 2, v20
	ds_load_b32 v22, v21 offset:4
	v_mov_b32_e32 v21, v17
.LBB14_48:
	s_or_b32 exec_lo, exec_lo, s1
	v_dual_add_nc_u32 v23, 1, v19 :: v_dual_add_nc_u32 v24, 1, v20
	s_wait_dscnt 0x0
	s_delay_alu instid0(VALU_DEP_2) | instskip(NEXT) | instid1(VALU_DEP_2)
	v_cmp_lt_i32_e64 s2, v22, v21
	v_dual_cndmask_b32 v25, v23, v19, s0 :: v_dual_cndmask_b32 v24, v20, v24, s0
                                        ; implicit-def: $vgpr23
	s_delay_alu instid0(VALU_DEP_1) | instskip(NEXT) | instid1(VALU_DEP_2)
	v_cmp_ge_i32_e64 s1, v25, v11
	v_cmp_lt_i32_e64 s3, v24, v2
	s_or_b32 s1, s1, s2
	s_delay_alu instid0(SALU_CYCLE_1) | instskip(NEXT) | instid1(SALU_CYCLE_1)
	s_and_b32 s1, s3, s1
	s_xor_b32 s2, s1, -1
	s_delay_alu instid0(SALU_CYCLE_1) | instskip(NEXT) | instid1(SALU_CYCLE_1)
	s_and_saveexec_b32 s3, s2
	s_xor_b32 s2, exec_lo, s3
; %bb.49:
	v_lshlrev_b32_e32 v23, 2, v25
	ds_load_b32 v23, v23 offset:4
; %bb.50:
	s_or_saveexec_b32 s2, s2
	v_mov_b32_e32 v26, v22
	s_xor_b32 exec_lo, exec_lo, s2
	s_cbranch_execz .LBB14_52
; %bb.51:
	s_wait_dscnt 0x0
	v_lshlrev_b32_e32 v23, 2, v24
	ds_load_b32 v26, v23 offset:4
	v_mov_b32_e32 v23, v21
.LBB14_52:
	s_or_b32 exec_lo, exec_lo, s2
	v_dual_add_nc_u32 v27, 1, v25 :: v_dual_cndmask_b32 v21, v21, v22, s1
	v_dual_add_nc_u32 v22, 1, v24 :: v_dual_cndmask_b32 v28, v25, v24, s1
	s_delay_alu instid0(VALU_DEP_2) | instskip(NEXT) | instid1(VALU_DEP_2)
	v_dual_cndmask_b32 v18, v17, v18, s0 :: v_dual_cndmask_b32 v17, v27, v25, s1
	v_dual_cndmask_b32 v19, v19, v20, s0 :: v_dual_cndmask_b32 v20, v24, v22, s1
	s_wait_dscnt 0x0
	v_cmp_lt_i32_e64 s0, v26, v23
	v_perm_b32 v3, v9, v3, 0x5040100
	v_cmp_ge_i32_e64 s1, v17, v11
	v_cmp_lt_i32_e64 s2, v20, v2
	v_perm_b32 v2, v12, v10, 0x5040100
	s_barrier_signal -1
	s_or_b32 s0, s1, s0
	s_barrier_wait -1
	s_and_b32 s0, s2, s0
	s_delay_alu instid0(SALU_CYCLE_1)
	v_dual_cndmask_b32 v15, v16, v15, vcc_lo :: v_dual_cndmask_b32 v22, v23, v26, s0
	v_cndmask_b32_e64 v9, v17, v20, s0
	ds_store_2addr_b32 v8, v3, v2 offset1:1
	v_lshlrev_b32_e32 v3, 1, v15
	v_dual_lshlrev_b32 v10, 1, v19 :: v_dual_lshlrev_b32 v12, 1, v28
	v_and_b32_e32 v16, 0x1c0, v0
	v_dual_lshlrev_b32 v17, 1, v9 :: v_dual_bitop2_b32 v15, 60, v0 bitop3:0x40
	s_wait_dscnt 0x0
	s_barrier_signal -1
	s_barrier_wait -1
	ds_load_u16 v3, v3
	ds_load_u16 v9, v10
	;; [unrolled: 1-line block ×4, first 2 shown]
	v_dual_add_nc_u32 v2, 64, v16 :: v_dual_bitop2_b32 v11, 32, v16 bitop3:0x54
	v_cndmask_b32_e32 v13, v13, v14, vcc_lo
	s_wait_dscnt 0x0
	s_barrier_signal -1
	s_barrier_wait -1
	v_sub_nc_u32_e32 v19, v2, v11
	ds_store_2addr_b32 v1, v13, v18 offset1:1
	ds_store_2addr_b32 v1, v21, v22 offset0:2 offset1:3
	v_lshlrev_b32_e32 v13, 2, v16
	s_mov_b32 s1, 0
	v_sub_nc_u32_e32 v14, v15, v19
	v_cmp_ge_i32_e32 vcc_lo, v15, v19
	v_sub_nc_u32_e32 v20, v11, v16
	s_mov_b32 s0, exec_lo
	s_wait_dscnt 0x0
	s_barrier_signal -1
	s_delay_alu instid0(VALU_DEP_1) | instskip(SKIP_1) | instid1(VALU_DEP_1)
	v_dual_cndmask_b32 v17, 0, v14 :: v_dual_min_i32 v14, v15, v20
	s_barrier_wait -1
	v_cmpx_lt_i32_e64 v17, v14
	s_cbranch_execz .LBB14_56
; %bb.53:
	v_lshlrev_b32_e32 v18, 2, v15
	s_delay_alu instid0(VALU_DEP_1)
	v_lshl_add_u32 v18, v11, 2, v18
.LBB14_54:                              ; =>This Inner Loop Header: Depth=1
	v_sub_nc_u32_e32 v19, v14, v17
	s_delay_alu instid0(VALU_DEP_1) | instskip(NEXT) | instid1(VALU_DEP_1)
	v_lshrrev_b32_e32 v19, 1, v19
	v_add_nc_u32_e32 v19, v19, v17
	s_delay_alu instid0(VALU_DEP_1) | instskip(SKIP_1) | instid1(VALU_DEP_2)
	v_not_b32_e32 v20, v19
	v_lshl_add_u32 v21, v19, 2, v13
	v_lshl_add_u32 v20, v20, 2, v18
	ds_load_b32 v21, v21
	ds_load_b32 v20, v20
	s_wait_dscnt 0x0
	v_cmp_lt_i32_e32 vcc_lo, v20, v21
	v_dual_add_nc_u32 v22, 1, v19 :: v_dual_cndmask_b32 v14, v14, v19, vcc_lo
	s_delay_alu instid0(VALU_DEP_1) | instskip(NEXT) | instid1(VALU_DEP_1)
	v_cndmask_b32_e32 v17, v22, v17, vcc_lo
	v_cmp_ge_i32_e32 vcc_lo, v17, v14
	s_or_b32 s1, vcc_lo, s1
	s_delay_alu instid0(SALU_CYCLE_1)
	s_and_not1_b32 exec_lo, exec_lo, s1
	s_cbranch_execnz .LBB14_54
; %bb.55:
	s_or_b32 exec_lo, exec_lo, s1
.LBB14_56:
	s_delay_alu instid0(SALU_CYCLE_1) | instskip(SKIP_2) | instid1(VALU_DEP_2)
	s_or_b32 exec_lo, exec_lo, s0
	v_add_nc_u32_e32 v14, v11, v15
	v_lshl_add_u32 v18, v17, 2, v13
	v_dual_add_nc_u32 v16, v17, v16 :: v_dual_sub_nc_u32 v15, v14, v17
                                        ; implicit-def: $vgpr17
	s_delay_alu instid0(VALU_DEP_1) | instskip(NEXT) | instid1(VALU_DEP_2)
	v_cmp_le_i32_e32 vcc_lo, v11, v16
	v_lshlrev_b32_e32 v19, 2, v15
	v_cmp_gt_i32_e64 s1, v2, v15
	ds_load_b32 v13, v18
	ds_load_b32 v14, v19
	s_wait_dscnt 0x0
	v_cmp_lt_i32_e64 s0, v14, v13
	s_or_b32 s0, vcc_lo, s0
	s_delay_alu instid0(SALU_CYCLE_1) | instskip(NEXT) | instid1(SALU_CYCLE_1)
	s_and_b32 vcc_lo, s1, s0
	s_xor_b32 s0, vcc_lo, -1
	s_delay_alu instid0(SALU_CYCLE_1) | instskip(NEXT) | instid1(SALU_CYCLE_1)
	s_and_saveexec_b32 s1, s0
	s_xor_b32 s0, exec_lo, s1
; %bb.57:
	ds_load_b32 v17, v18 offset:4
                                        ; implicit-def: $vgpr19
; %bb.58:
	s_or_saveexec_b32 s0, s0
	v_mov_b32_e32 v18, v14
	s_xor_b32 exec_lo, exec_lo, s0
	s_cbranch_execz .LBB14_60
; %bb.59:
	ds_load_b32 v18, v19 offset:4
	s_wait_dscnt 0x1
	v_mov_b32_e32 v17, v13
.LBB14_60:
	s_or_b32 exec_lo, exec_lo, s0
	v_dual_add_nc_u32 v19, 1, v16 :: v_dual_add_nc_u32 v20, 1, v15
	s_wait_dscnt 0x0
	s_delay_alu instid0(VALU_DEP_2) | instskip(NEXT) | instid1(VALU_DEP_2)
	v_cmp_lt_i32_e64 s1, v18, v17
                                        ; implicit-def: $vgpr21
	v_cndmask_b32_e32 v19, v19, v16, vcc_lo
	s_delay_alu instid0(VALU_DEP_3) | instskip(NEXT) | instid1(VALU_DEP_2)
	v_cndmask_b32_e32 v20, v15, v20, vcc_lo
	v_cmp_ge_i32_e64 s0, v19, v11
	s_delay_alu instid0(VALU_DEP_2) | instskip(SKIP_1) | instid1(SALU_CYCLE_1)
	v_cmp_lt_i32_e64 s2, v20, v2
	s_or_b32 s0, s0, s1
	s_and_b32 s0, s2, s0
	s_delay_alu instid0(SALU_CYCLE_1) | instskip(NEXT) | instid1(SALU_CYCLE_1)
	s_xor_b32 s1, s0, -1
	s_and_saveexec_b32 s2, s1
	s_delay_alu instid0(SALU_CYCLE_1)
	s_xor_b32 s1, exec_lo, s2
; %bb.61:
	v_lshlrev_b32_e32 v21, 2, v19
	ds_load_b32 v21, v21 offset:4
; %bb.62:
	s_or_saveexec_b32 s1, s1
	v_mov_b32_e32 v22, v18
	s_xor_b32 exec_lo, exec_lo, s1
	s_cbranch_execz .LBB14_64
; %bb.63:
	s_wait_dscnt 0x0
	v_lshlrev_b32_e32 v21, 2, v20
	ds_load_b32 v22, v21 offset:4
	v_mov_b32_e32 v21, v17
.LBB14_64:
	s_or_b32 exec_lo, exec_lo, s1
	v_dual_add_nc_u32 v23, 1, v19 :: v_dual_add_nc_u32 v24, 1, v20
	s_wait_dscnt 0x0
	s_delay_alu instid0(VALU_DEP_2) | instskip(NEXT) | instid1(VALU_DEP_2)
	v_cmp_lt_i32_e64 s2, v22, v21
	v_dual_cndmask_b32 v25, v23, v19, s0 :: v_dual_cndmask_b32 v24, v20, v24, s0
                                        ; implicit-def: $vgpr23
	s_delay_alu instid0(VALU_DEP_1) | instskip(NEXT) | instid1(VALU_DEP_2)
	v_cmp_ge_i32_e64 s1, v25, v11
	v_cmp_lt_i32_e64 s3, v24, v2
	s_or_b32 s1, s1, s2
	s_delay_alu instid0(SALU_CYCLE_1) | instskip(NEXT) | instid1(SALU_CYCLE_1)
	s_and_b32 s1, s3, s1
	s_xor_b32 s2, s1, -1
	s_delay_alu instid0(SALU_CYCLE_1) | instskip(NEXT) | instid1(SALU_CYCLE_1)
	s_and_saveexec_b32 s3, s2
	s_xor_b32 s2, exec_lo, s3
; %bb.65:
	v_lshlrev_b32_e32 v23, 2, v25
	ds_load_b32 v23, v23 offset:4
; %bb.66:
	s_or_saveexec_b32 s2, s2
	v_mov_b32_e32 v26, v22
	s_xor_b32 exec_lo, exec_lo, s2
	s_cbranch_execz .LBB14_68
; %bb.67:
	s_wait_dscnt 0x0
	v_lshlrev_b32_e32 v23, 2, v24
	ds_load_b32 v26, v23 offset:4
	v_mov_b32_e32 v23, v21
.LBB14_68:
	s_or_b32 exec_lo, exec_lo, s2
	v_dual_add_nc_u32 v27, 1, v25 :: v_dual_cndmask_b32 v21, v21, v22, s1
	v_dual_add_nc_u32 v22, 1, v24 :: v_dual_cndmask_b32 v28, v25, v24, s1
	s_delay_alu instid0(VALU_DEP_2) | instskip(NEXT) | instid1(VALU_DEP_2)
	v_dual_cndmask_b32 v18, v17, v18, s0 :: v_dual_cndmask_b32 v17, v27, v25, s1
	v_dual_cndmask_b32 v19, v19, v20, s0 :: v_dual_cndmask_b32 v20, v24, v22, s1
	s_wait_dscnt 0x0
	v_cmp_lt_i32_e64 s0, v26, v23
	v_perm_b32 v3, v9, v3, 0x5040100
	v_cmp_ge_i32_e64 s1, v17, v11
	v_cmp_lt_i32_e64 s2, v20, v2
	v_perm_b32 v2, v12, v10, 0x5040100
	s_barrier_signal -1
	s_or_b32 s0, s1, s0
	s_barrier_wait -1
	s_and_b32 s0, s2, s0
	s_delay_alu instid0(SALU_CYCLE_1)
	v_dual_cndmask_b32 v15, v16, v15, vcc_lo :: v_dual_cndmask_b32 v22, v23, v26, s0
	v_and_b32_e32 v16, 0x180, v0
	v_cndmask_b32_e64 v9, v17, v20, s0
	ds_store_2addr_b32 v8, v3, v2 offset1:1
	v_dual_lshlrev_b32 v3, 1, v15 :: v_dual_bitop2_b32 v11, 64, v16 bitop3:0x54
	v_dual_lshlrev_b32 v10, 1, v19 :: v_dual_lshlrev_b32 v12, 1, v28
	v_lshlrev_b32_e32 v17, 1, v9
	s_wait_dscnt 0x0
	s_barrier_signal -1
	s_barrier_wait -1
	ds_load_u16 v3, v3
	ds_load_u16 v9, v10
	;; [unrolled: 1-line block ×4, first 2 shown]
	v_dual_cndmask_b32 v13, v13, v14 :: v_dual_add_nc_u32 v2, 0x80, v16
	v_and_b32_e32 v15, 0x7c, v0
	v_sub_nc_u32_e32 v20, v11, v16
	s_wait_dscnt 0x0
	s_delay_alu instid0(VALU_DEP_3)
	v_sub_nc_u32_e32 v19, v2, v11
	s_barrier_signal -1
	s_barrier_wait -1
	ds_store_2addr_b32 v1, v13, v18 offset1:1
	ds_store_2addr_b32 v1, v21, v22 offset0:2 offset1:3
	v_dual_sub_nc_u32 v14, v15, v19 :: v_dual_lshlrev_b32 v13, 2, v16
	v_cmp_ge_i32_e32 vcc_lo, v15, v19
	s_mov_b32 s1, 0
	s_mov_b32 s0, exec_lo
	s_wait_dscnt 0x0
	s_barrier_signal -1
	v_dual_cndmask_b32 v17, 0, v14 :: v_dual_min_i32 v14, v15, v20
	s_barrier_wait -1
	s_delay_alu instid0(VALU_DEP_1)
	v_cmpx_lt_i32_e64 v17, v14
	s_cbranch_execz .LBB14_72
; %bb.69:
	v_lshlrev_b32_e32 v18, 2, v15
	s_delay_alu instid0(VALU_DEP_1)
	v_lshl_add_u32 v18, v11, 2, v18
.LBB14_70:                              ; =>This Inner Loop Header: Depth=1
	v_sub_nc_u32_e32 v19, v14, v17
	s_delay_alu instid0(VALU_DEP_1) | instskip(NEXT) | instid1(VALU_DEP_1)
	v_lshrrev_b32_e32 v19, 1, v19
	v_add_nc_u32_e32 v19, v19, v17
	s_delay_alu instid0(VALU_DEP_1) | instskip(SKIP_1) | instid1(VALU_DEP_2)
	v_not_b32_e32 v20, v19
	v_lshl_add_u32 v21, v19, 2, v13
	v_lshl_add_u32 v20, v20, 2, v18
	ds_load_b32 v21, v21
	ds_load_b32 v20, v20
	s_wait_dscnt 0x0
	v_cmp_lt_i32_e32 vcc_lo, v20, v21
	v_dual_add_nc_u32 v22, 1, v19 :: v_dual_cndmask_b32 v14, v14, v19, vcc_lo
	s_delay_alu instid0(VALU_DEP_1) | instskip(NEXT) | instid1(VALU_DEP_1)
	v_cndmask_b32_e32 v17, v22, v17, vcc_lo
	v_cmp_ge_i32_e32 vcc_lo, v17, v14
	s_or_b32 s1, vcc_lo, s1
	s_delay_alu instid0(SALU_CYCLE_1)
	s_and_not1_b32 exec_lo, exec_lo, s1
	s_cbranch_execnz .LBB14_70
; %bb.71:
	s_or_b32 exec_lo, exec_lo, s1
.LBB14_72:
	s_delay_alu instid0(SALU_CYCLE_1) | instskip(SKIP_2) | instid1(VALU_DEP_2)
	s_or_b32 exec_lo, exec_lo, s0
	v_add_nc_u32_e32 v14, v11, v15
	v_lshl_add_u32 v18, v17, 2, v13
	v_dual_add_nc_u32 v16, v17, v16 :: v_dual_sub_nc_u32 v15, v14, v17
                                        ; implicit-def: $vgpr17
	s_delay_alu instid0(VALU_DEP_1) | instskip(NEXT) | instid1(VALU_DEP_2)
	v_cmp_le_i32_e32 vcc_lo, v11, v16
	v_lshlrev_b32_e32 v19, 2, v15
	v_cmp_gt_i32_e64 s1, v2, v15
	ds_load_b32 v13, v18
	ds_load_b32 v14, v19
	s_wait_dscnt 0x0
	v_cmp_lt_i32_e64 s0, v14, v13
	s_or_b32 s0, vcc_lo, s0
	s_delay_alu instid0(SALU_CYCLE_1) | instskip(NEXT) | instid1(SALU_CYCLE_1)
	s_and_b32 vcc_lo, s1, s0
	s_xor_b32 s0, vcc_lo, -1
	s_delay_alu instid0(SALU_CYCLE_1) | instskip(NEXT) | instid1(SALU_CYCLE_1)
	s_and_saveexec_b32 s1, s0
	s_xor_b32 s0, exec_lo, s1
; %bb.73:
	ds_load_b32 v17, v18 offset:4
                                        ; implicit-def: $vgpr19
; %bb.74:
	s_or_saveexec_b32 s0, s0
	v_mov_b32_e32 v18, v14
	s_xor_b32 exec_lo, exec_lo, s0
	s_cbranch_execz .LBB14_76
; %bb.75:
	ds_load_b32 v18, v19 offset:4
	s_wait_dscnt 0x1
	v_mov_b32_e32 v17, v13
.LBB14_76:
	s_or_b32 exec_lo, exec_lo, s0
	v_dual_add_nc_u32 v19, 1, v16 :: v_dual_add_nc_u32 v20, 1, v15
	s_wait_dscnt 0x0
	s_delay_alu instid0(VALU_DEP_2) | instskip(NEXT) | instid1(VALU_DEP_2)
	v_cmp_lt_i32_e64 s1, v18, v17
                                        ; implicit-def: $vgpr21
	v_cndmask_b32_e32 v19, v19, v16, vcc_lo
	s_delay_alu instid0(VALU_DEP_3) | instskip(NEXT) | instid1(VALU_DEP_2)
	v_cndmask_b32_e32 v20, v15, v20, vcc_lo
	v_cmp_ge_i32_e64 s0, v19, v11
	s_delay_alu instid0(VALU_DEP_2) | instskip(SKIP_1) | instid1(SALU_CYCLE_1)
	v_cmp_lt_i32_e64 s2, v20, v2
	s_or_b32 s0, s0, s1
	s_and_b32 s0, s2, s0
	s_delay_alu instid0(SALU_CYCLE_1) | instskip(NEXT) | instid1(SALU_CYCLE_1)
	s_xor_b32 s1, s0, -1
	s_and_saveexec_b32 s2, s1
	s_delay_alu instid0(SALU_CYCLE_1)
	s_xor_b32 s1, exec_lo, s2
; %bb.77:
	v_lshlrev_b32_e32 v21, 2, v19
	ds_load_b32 v21, v21 offset:4
; %bb.78:
	s_or_saveexec_b32 s1, s1
	v_mov_b32_e32 v22, v18
	s_xor_b32 exec_lo, exec_lo, s1
	s_cbranch_execz .LBB14_80
; %bb.79:
	s_wait_dscnt 0x0
	v_lshlrev_b32_e32 v21, 2, v20
	ds_load_b32 v22, v21 offset:4
	v_mov_b32_e32 v21, v17
.LBB14_80:
	s_or_b32 exec_lo, exec_lo, s1
	v_dual_add_nc_u32 v23, 1, v19 :: v_dual_add_nc_u32 v24, 1, v20
	s_wait_dscnt 0x0
	s_delay_alu instid0(VALU_DEP_2) | instskip(NEXT) | instid1(VALU_DEP_2)
	v_cmp_lt_i32_e64 s2, v22, v21
	v_dual_cndmask_b32 v25, v23, v19, s0 :: v_dual_cndmask_b32 v24, v20, v24, s0
                                        ; implicit-def: $vgpr23
	s_delay_alu instid0(VALU_DEP_1) | instskip(NEXT) | instid1(VALU_DEP_2)
	v_cmp_ge_i32_e64 s1, v25, v11
	v_cmp_lt_i32_e64 s3, v24, v2
	s_or_b32 s1, s1, s2
	s_delay_alu instid0(SALU_CYCLE_1) | instskip(NEXT) | instid1(SALU_CYCLE_1)
	s_and_b32 s1, s3, s1
	s_xor_b32 s2, s1, -1
	s_delay_alu instid0(SALU_CYCLE_1) | instskip(NEXT) | instid1(SALU_CYCLE_1)
	s_and_saveexec_b32 s3, s2
	s_xor_b32 s2, exec_lo, s3
; %bb.81:
	v_lshlrev_b32_e32 v23, 2, v25
	ds_load_b32 v23, v23 offset:4
; %bb.82:
	s_or_saveexec_b32 s2, s2
	v_mov_b32_e32 v26, v22
	s_xor_b32 exec_lo, exec_lo, s2
	s_cbranch_execz .LBB14_84
; %bb.83:
	s_wait_dscnt 0x0
	v_lshlrev_b32_e32 v23, 2, v24
	ds_load_b32 v26, v23 offset:4
	v_mov_b32_e32 v23, v21
.LBB14_84:
	s_or_b32 exec_lo, exec_lo, s2
	v_dual_add_nc_u32 v27, 1, v25 :: v_dual_cndmask_b32 v21, v21, v22, s1
	v_dual_add_nc_u32 v22, 1, v24 :: v_dual_cndmask_b32 v28, v25, v24, s1
	s_delay_alu instid0(VALU_DEP_2) | instskip(NEXT) | instid1(VALU_DEP_2)
	v_dual_cndmask_b32 v17, v17, v18, s0 :: v_dual_cndmask_b32 v18, v27, v25, s1
	v_dual_cndmask_b32 v19, v19, v20, s0 :: v_dual_cndmask_b32 v20, v24, v22, s1
	s_wait_dscnt 0x0
	v_cmp_lt_i32_e64 s0, v26, v23
	v_perm_b32 v3, v9, v3, 0x5040100
	v_cmp_ge_i32_e64 s1, v18, v11
	v_cmp_lt_i32_e64 s2, v20, v2
	v_perm_b32 v2, v12, v10, 0x5040100
	s_barrier_signal -1
	s_or_b32 s0, s1, s0
	s_barrier_wait -1
	s_and_b32 s0, s2, s0
	s_delay_alu instid0(SALU_CYCLE_1)
	v_dual_cndmask_b32 v16, v16, v15, vcc_lo :: v_dual_cndmask_b32 v22, v23, v26, s0
	v_and_b32_e32 v15, 0x100, v0
	v_dual_cndmask_b32 v9, v18, v20, s0 :: v_dual_lshlrev_b32 v11, 1, v19
	ds_store_2addr_b32 v8, v3, v2 offset1:1
	v_dual_lshlrev_b32 v10, 1, v16 :: v_dual_lshlrev_b32 v18, 1, v9
	v_or_b32_e32 v3, 0x80, v15
	v_dual_cndmask_b32 v13, v13, v14 :: v_dual_add_nc_u32 v2, 0x100, v15
	v_lshlrev_b32_e32 v12, 1, v28
	s_wait_dscnt 0x0
	s_barrier_signal -1
	s_barrier_wait -1
	v_sub_nc_u32_e32 v19, v2, v3
	ds_load_u16 v9, v10
	ds_load_u16 v10, v11
	;; [unrolled: 1-line block ×4, first 2 shown]
	v_and_b32_e32 v16, 0xfc, v0
	s_wait_dscnt 0x0
	s_barrier_signal -1
	s_barrier_wait -1
	s_delay_alu instid0(VALU_DEP_1)
	v_sub_nc_u32_e32 v14, v16, v19
	v_cmp_ge_i32_e32 vcc_lo, v16, v19
	v_sub_nc_u32_e32 v20, v3, v15
	ds_store_2addr_b32 v1, v13, v17 offset1:1
	ds_store_2addr_b32 v1, v21, v22 offset0:2 offset1:3
	v_lshlrev_b32_e32 v13, 2, v15
	s_mov_b32 s1, 0
	v_dual_cndmask_b32 v18, 0, v14, vcc_lo :: v_dual_min_i32 v14, v16, v20
	s_mov_b32 s0, exec_lo
	s_wait_dscnt 0x0
	s_barrier_signal -1
	s_barrier_wait -1
	v_cmpx_lt_i32_e64 v18, v14
	s_cbranch_execz .LBB14_88
; %bb.85:
	v_lshlrev_b32_e32 v17, 2, v16
	s_delay_alu instid0(VALU_DEP_1)
	v_lshl_add_u32 v17, v3, 2, v17
.LBB14_86:                              ; =>This Inner Loop Header: Depth=1
	v_sub_nc_u32_e32 v19, v14, v18
	s_delay_alu instid0(VALU_DEP_1) | instskip(NEXT) | instid1(VALU_DEP_1)
	v_lshrrev_b32_e32 v19, 1, v19
	v_add_nc_u32_e32 v19, v19, v18
	s_delay_alu instid0(VALU_DEP_1) | instskip(SKIP_1) | instid1(VALU_DEP_2)
	v_not_b32_e32 v20, v19
	v_lshl_add_u32 v21, v19, 2, v13
	v_lshl_add_u32 v20, v20, 2, v17
	ds_load_b32 v21, v21
	ds_load_b32 v20, v20
	s_wait_dscnt 0x0
	v_cmp_lt_i32_e32 vcc_lo, v20, v21
	v_dual_add_nc_u32 v22, 1, v19 :: v_dual_cndmask_b32 v14, v14, v19, vcc_lo
	s_delay_alu instid0(VALU_DEP_1) | instskip(NEXT) | instid1(VALU_DEP_1)
	v_cndmask_b32_e32 v18, v22, v18, vcc_lo
	v_cmp_ge_i32_e32 vcc_lo, v18, v14
	s_or_b32 s1, vcc_lo, s1
	s_delay_alu instid0(SALU_CYCLE_1)
	s_and_not1_b32 exec_lo, exec_lo, s1
	s_cbranch_execnz .LBB14_86
; %bb.87:
	s_or_b32 exec_lo, exec_lo, s1
.LBB14_88:
	s_delay_alu instid0(SALU_CYCLE_1) | instskip(SKIP_2) | instid1(VALU_DEP_2)
	s_or_b32 exec_lo, exec_lo, s0
	v_add_nc_u32_e32 v14, v3, v16
	v_lshl_add_u32 v16, v18, 2, v13
	v_sub_nc_u32_e32 v17, v14, v18
	v_add_nc_u32_e32 v18, v18, v15
                                        ; implicit-def: $vgpr15
	s_delay_alu instid0(VALU_DEP_2) | instskip(NEXT) | instid1(VALU_DEP_2)
	v_lshlrev_b32_e32 v19, 2, v17
	v_cmp_le_i32_e32 vcc_lo, v3, v18
	v_cmp_gt_i32_e64 s1, v2, v17
	ds_load_b32 v13, v16
	ds_load_b32 v14, v19
	s_wait_dscnt 0x0
	v_cmp_lt_i32_e64 s0, v14, v13
	s_or_b32 s0, vcc_lo, s0
	s_delay_alu instid0(SALU_CYCLE_1) | instskip(NEXT) | instid1(SALU_CYCLE_1)
	s_and_b32 vcc_lo, s1, s0
	s_xor_b32 s0, vcc_lo, -1
	s_delay_alu instid0(SALU_CYCLE_1) | instskip(NEXT) | instid1(SALU_CYCLE_1)
	s_and_saveexec_b32 s1, s0
	s_xor_b32 s0, exec_lo, s1
; %bb.89:
	ds_load_b32 v15, v16 offset:4
                                        ; implicit-def: $vgpr19
; %bb.90:
	s_or_saveexec_b32 s0, s0
	v_mov_b32_e32 v16, v14
	s_xor_b32 exec_lo, exec_lo, s0
	s_cbranch_execz .LBB14_92
; %bb.91:
	ds_load_b32 v16, v19 offset:4
	s_wait_dscnt 0x1
	v_mov_b32_e32 v15, v13
.LBB14_92:
	s_or_b32 exec_lo, exec_lo, s0
	v_dual_add_nc_u32 v19, 1, v18 :: v_dual_add_nc_u32 v20, 1, v17
	s_wait_dscnt 0x0
	s_delay_alu instid0(VALU_DEP_2) | instskip(NEXT) | instid1(VALU_DEP_2)
	v_cmp_lt_i32_e64 s1, v16, v15
	v_dual_cndmask_b32 v21, v19, v18 :: v_dual_cndmask_b32 v22, v17, v20
                                        ; implicit-def: $vgpr19
	s_delay_alu instid0(VALU_DEP_1) | instskip(NEXT) | instid1(VALU_DEP_2)
	v_cmp_ge_i32_e64 s0, v21, v3
	v_cmp_lt_i32_e64 s2, v22, v2
	s_or_b32 s0, s0, s1
	s_delay_alu instid0(SALU_CYCLE_1) | instskip(NEXT) | instid1(SALU_CYCLE_1)
	s_and_b32 s0, s2, s0
	s_xor_b32 s1, s0, -1
	s_delay_alu instid0(SALU_CYCLE_1) | instskip(NEXT) | instid1(SALU_CYCLE_1)
	s_and_saveexec_b32 s2, s1
	s_xor_b32 s1, exec_lo, s2
; %bb.93:
	v_lshlrev_b32_e32 v19, 2, v21
	ds_load_b32 v19, v19 offset:4
; %bb.94:
	s_or_saveexec_b32 s1, s1
	v_mov_b32_e32 v20, v16
	s_xor_b32 exec_lo, exec_lo, s1
	s_cbranch_execz .LBB14_96
; %bb.95:
	s_wait_dscnt 0x0
	v_lshlrev_b32_e32 v19, 2, v22
	ds_load_b32 v20, v19 offset:4
	v_mov_b32_e32 v19, v15
.LBB14_96:
	s_or_b32 exec_lo, exec_lo, s1
	v_dual_add_nc_u32 v23, 1, v21 :: v_dual_add_nc_u32 v24, 1, v22
	s_wait_dscnt 0x0
	s_delay_alu instid0(VALU_DEP_2) | instskip(NEXT) | instid1(VALU_DEP_2)
	v_cmp_lt_i32_e64 s2, v20, v19
	v_dual_cndmask_b32 v25, v23, v21, s0 :: v_dual_cndmask_b32 v24, v22, v24, s0
                                        ; implicit-def: $vgpr23
	s_delay_alu instid0(VALU_DEP_1) | instskip(NEXT) | instid1(VALU_DEP_2)
	v_cmp_ge_i32_e64 s1, v25, v3
	v_cmp_lt_i32_e64 s3, v24, v2
	s_or_b32 s1, s1, s2
	s_delay_alu instid0(SALU_CYCLE_1) | instskip(NEXT) | instid1(SALU_CYCLE_1)
	s_and_b32 s1, s3, s1
	s_xor_b32 s2, s1, -1
	s_delay_alu instid0(SALU_CYCLE_1) | instskip(NEXT) | instid1(SALU_CYCLE_1)
	s_and_saveexec_b32 s3, s2
	s_xor_b32 s2, exec_lo, s3
; %bb.97:
	v_lshlrev_b32_e32 v23, 2, v25
	ds_load_b32 v23, v23 offset:4
; %bb.98:
	s_or_saveexec_b32 s2, s2
	v_mov_b32_e32 v26, v20
	s_xor_b32 exec_lo, exec_lo, s2
	s_cbranch_execz .LBB14_100
; %bb.99:
	s_wait_dscnt 0x0
	v_lshlrev_b32_e32 v23, 2, v24
	ds_load_b32 v26, v23 offset:4
	v_mov_b32_e32 v23, v19
.LBB14_100:
	s_or_b32 exec_lo, exec_lo, s2
	v_dual_add_nc_u32 v27, 1, v25 :: v_dual_add_nc_u32 v28, 1, v24
	v_dual_cndmask_b32 v29, v25, v24, s1 :: v_dual_cndmask_b32 v17, v18, v17, vcc_lo
	s_delay_alu instid0(VALU_DEP_2) | instskip(NEXT) | instid1(VALU_DEP_3)
	v_dual_cndmask_b32 v21, v21, v22, s0 :: v_dual_cndmask_b32 v18, v27, v25, s1
	v_cndmask_b32_e64 v22, v24, v28, s1
	s_wait_dscnt 0x0
	v_cmp_lt_i32_e64 s2, v26, v23
	s_barrier_signal -1
	v_cmp_ge_i32_e64 s3, v18, v3
	v_cmp_lt_i32_e64 s4, v22, v2
	v_perm_b32 v2, v12, v11, 0x5040100
	v_perm_b32 v3, v10, v9, 0x5040100
	s_barrier_wait -1
	s_or_b32 s2, s3, s2
	s_delay_alu instid0(SALU_CYCLE_1)
	s_and_b32 s2, s4, s2
	ds_store_2addr_b32 v8, v3, v2 offset1:1
	v_cndmask_b32_e64 v23, v23, v26, s2
	v_dual_cndmask_b32 v9, v18, v22, s2 :: v_dual_lshlrev_b32 v2, 1, v17
	v_dual_lshlrev_b32 v3, 1, v21 :: v_dual_cndmask_b32 v17, v19, v20, s1
	v_dual_lshlrev_b32 v11, 1, v29 :: v_dual_cndmask_b32 v15, v15, v16, s0
	s_delay_alu instid0(VALU_DEP_3)
	v_dual_cndmask_b32 v13, v13, v14 :: v_dual_lshlrev_b32 v12, 1, v9
	s_wait_dscnt 0x0
	s_barrier_signal -1
	s_barrier_wait -1
	ds_load_u16 v9, v2
	ds_load_u16 v10, v3
	;; [unrolled: 1-line block ×4, first 2 shown]
	v_and_b32_e32 v2, 0x1fc, v0
	s_mov_b32 s0, exec_lo
	s_wait_dscnt 0x0
	s_barrier_signal -1
	s_barrier_wait -1
	v_subrev_nc_u32_e64 v0, 0x100, v2 clamp
	v_min_i32_e32 v12, 0x100, v2
	ds_store_2addr_b32 v1, v13, v15 offset1:1
	ds_store_2addr_b32 v1, v17, v23 offset0:2 offset1:3
	s_wait_dscnt 0x0
	s_barrier_signal -1
	s_barrier_wait -1
	v_cmpx_lt_i32_e64 v0, v12
	s_cbranch_execz .LBB14_104
; %bb.101:
	v_lshlrev_b32_e32 v1, 2, v2
	s_mov_b32 s1, 0
	s_delay_alu instid0(VALU_DEP_1)
	v_lshl_add_u32 v1, 0x100, 2, v1
.LBB14_102:                             ; =>This Inner Loop Header: Depth=1
	v_sub_nc_u32_e32 v13, v12, v0
	s_delay_alu instid0(VALU_DEP_1) | instskip(NEXT) | instid1(VALU_DEP_1)
	v_lshrrev_b32_e32 v13, 1, v13
	v_add_nc_u32_e32 v13, v13, v0
	s_delay_alu instid0(VALU_DEP_1) | instskip(SKIP_1) | instid1(VALU_DEP_2)
	v_not_b32_e32 v14, v13
	v_dual_lshlrev_b32 v15, 2, v13 :: v_dual_add_nc_u32 v16, 1, v13
	v_lshl_add_u32 v14, v14, 2, v1
	ds_load_b32 v15, v15
	ds_load_b32 v14, v14
	s_wait_dscnt 0x0
	v_cmp_lt_i32_e32 vcc_lo, v14, v15
	v_cndmask_b32_e32 v12, v12, v13, vcc_lo
	v_cndmask_b32_e32 v0, v16, v0, vcc_lo
	s_delay_alu instid0(VALU_DEP_1) | instskip(SKIP_1) | instid1(SALU_CYCLE_1)
	v_cmp_ge_i32_e32 vcc_lo, v0, v12
	s_or_b32 s1, vcc_lo, s1
	s_and_not1_b32 exec_lo, exec_lo, s1
	s_cbranch_execnz .LBB14_102
; %bb.103:
	s_or_b32 exec_lo, exec_lo, s1
.LBB14_104:
	s_delay_alu instid0(SALU_CYCLE_1) | instskip(SKIP_2) | instid1(VALU_DEP_2)
	s_or_b32 exec_lo, exec_lo, s0
	v_add_nc_u32_e32 v1, 0x100, v2
	v_cmp_le_i32_e32 vcc_lo, 0x100, v0
	v_dual_lshlrev_b32 v14, 2, v0 :: v_dual_sub_nc_u32 v15, v1, v0
                                        ; implicit-def: $vgpr1
	s_delay_alu instid0(VALU_DEP_1)
	v_lshlrev_b32_e32 v2, 2, v15
	v_cmp_gt_i32_e64 s1, 0x200, v15
	ds_load_b32 v12, v14
	ds_load_b32 v13, v2
	s_wait_dscnt 0x0
	v_cmp_lt_i32_e64 s0, v13, v12
	s_or_b32 s0, vcc_lo, s0
	s_delay_alu instid0(SALU_CYCLE_1) | instskip(NEXT) | instid1(SALU_CYCLE_1)
	s_and_b32 vcc_lo, s1, s0
	s_xor_b32 s0, vcc_lo, -1
	s_delay_alu instid0(SALU_CYCLE_1) | instskip(NEXT) | instid1(SALU_CYCLE_1)
	s_and_saveexec_b32 s1, s0
	s_xor_b32 s0, exec_lo, s1
; %bb.105:
	ds_load_b32 v1, v14 offset:4
                                        ; implicit-def: $vgpr2
; %bb.106:
	s_or_saveexec_b32 s0, s0
	v_mov_b32_e32 v14, v13
	s_xor_b32 exec_lo, exec_lo, s0
	s_cbranch_execz .LBB14_108
; %bb.107:
	ds_load_b32 v14, v2 offset:4
	s_wait_dscnt 0x1
	v_mov_b32_e32 v1, v12
.LBB14_108:
	s_or_b32 exec_lo, exec_lo, s0
	v_dual_add_nc_u32 v2, 1, v0 :: v_dual_add_nc_u32 v17, 1, v15
	s_wait_dscnt 0x0
	s_delay_alu instid0(VALU_DEP_2) | instskip(NEXT) | instid1(VALU_DEP_2)
	v_cmp_lt_i32_e64 s1, v14, v1
                                        ; implicit-def: $vgpr20
	v_dual_cndmask_b32 v16, v2, v0 :: v_dual_cndmask_b32 v17, v15, v17
	s_delay_alu instid0(VALU_DEP_1) | instskip(NEXT) | instid1(VALU_DEP_2)
	v_cmp_le_i32_e64 s0, 0x100, v16
	v_cmp_gt_i32_e64 s2, 0x200, v17
	s_or_b32 s0, s0, s1
	s_delay_alu instid0(SALU_CYCLE_1) | instskip(NEXT) | instid1(SALU_CYCLE_1)
	s_and_b32 s0, s2, s0
	s_xor_b32 s1, s0, -1
	s_delay_alu instid0(SALU_CYCLE_1) | instskip(NEXT) | instid1(SALU_CYCLE_1)
	s_and_saveexec_b32 s2, s1
	s_xor_b32 s1, exec_lo, s2
; %bb.109:
	v_lshlrev_b32_e32 v2, 2, v16
	ds_load_b32 v20, v2 offset:4
; %bb.110:
	s_or_saveexec_b32 s1, s1
	v_mov_b32_e32 v18, v14
	s_xor_b32 exec_lo, exec_lo, s1
	s_cbranch_execz .LBB14_112
; %bb.111:
	s_wait_dscnt 0x0
	v_dual_lshlrev_b32 v2, 2, v17 :: v_dual_mov_b32 v20, v1
	ds_load_b32 v18, v2 offset:4
.LBB14_112:
	s_or_b32 exec_lo, exec_lo, s1
	v_dual_add_nc_u32 v2, 1, v16 :: v_dual_add_nc_u32 v19, 1, v17
	s_wait_dscnt 0x0
	v_cmp_ge_i32_e64 s2, v18, v20
                                        ; implicit-def: $vgpr23
                                        ; implicit-def: $vgpr22
	s_delay_alu instid0(VALU_DEP_2) | instskip(NEXT) | instid1(VALU_DEP_1)
	v_dual_cndmask_b32 v24, v2, v16, s0 :: v_dual_cndmask_b32 v19, v17, v19, s0
	v_cmp_gt_i32_e64 s1, 0x100, v24
	s_delay_alu instid0(VALU_DEP_2) | instskip(SKIP_1) | instid1(SALU_CYCLE_1)
	v_cmp_lt_i32_e64 s3, 0x1ff, v19
	s_and_b32 s1, s1, s2
	s_or_b32 s1, s3, s1
	s_delay_alu instid0(SALU_CYCLE_1) | instskip(NEXT) | instid1(SALU_CYCLE_1)
	s_and_saveexec_b32 s2, s1
	s_xor_b32 s1, exec_lo, s2
; %bb.113:
	v_dual_lshlrev_b32 v2, 2, v24 :: v_dual_add_nc_u32 v22, 1, v24
	ds_load_b32 v23, v2 offset:4
; %bb.114:
	s_or_saveexec_b32 s1, s1
	v_dual_mov_b32 v2, v20 :: v_dual_mov_b32 v21, v24
	s_xor_b32 exec_lo, exec_lo, s1
	s_cbranch_execz .LBB14_116
; %bb.115:
	s_wait_dscnt 0x0
	v_dual_lshlrev_b32 v2, 2, v19 :: v_dual_add_nc_u32 v23, 1, v19
	v_dual_mov_b32 v22, v24 :: v_dual_mov_b32 v21, v19
	ds_load_b32 v25, v2 offset:4
	v_dual_mov_b32 v2, v18 :: v_dual_mov_b32 v19, v23
	s_wait_dscnt 0x0
	v_dual_mov_b32 v23, v20 :: v_dual_mov_b32 v18, v25
.LBB14_116:
	s_or_b32 exec_lo, exec_lo, s1
	v_cmp_le_i32_e64 s1, 0x100, v22
	s_wait_dscnt 0x0
	s_delay_alu instid0(VALU_DEP_2)
	v_cmp_lt_i32_e64 s2, v18, v23
	v_cmp_gt_i32_e64 s3, 0x200, v19
	v_perm_b32 v11, v11, v3, 0x5040100
	v_perm_b32 v9, v10, v9, 0x5040100
	s_or_b32 s1, s1, s2
	s_barrier_signal -1
	s_and_b32 s1, s3, s1
	s_delay_alu instid0(SALU_CYCLE_1)
	v_dual_cndmask_b32 v16, v16, v17, s0 :: v_dual_cndmask_b32 v3, v23, v18, s1
	v_cndmask_b32_e32 v0, v0, v15, vcc_lo
	s_barrier_wait -1
	ds_store_2addr_b32 v8, v9, v11 offset1:1
	v_dual_lshlrev_b32 v8, 1, v16 :: v_dual_cndmask_b32 v15, v22, v19, s1
	v_dual_lshlrev_b32 v0, 1, v0 :: v_dual_lshlrev_b32 v9, 1, v21
	s_wait_dscnt 0x0
	s_barrier_signal -1
	s_delay_alu instid0(VALU_DEP_2)
	v_lshlrev_b32_e32 v10, 1, v15
	s_barrier_wait -1
	ds_load_u16 v11, v0
	ds_load_u16 v8, v8
	;; [unrolled: 1-line block ×4, first 2 shown]
	v_dual_cndmask_b32 v1, v1, v14, s0 :: v_dual_cndmask_b32 v0, v12, v13, vcc_lo
	s_wait_dscnt 0x2
	v_perm_b32 v8, v8, v11, 0x5040100
	s_wait_dscnt 0x0
	v_perm_b32 v9, v10, v9, 0x5040100
	global_store_b128 v[6:7], v[0:3], off
	global_store_b64 v[4:5], v[8:9], off
	s_endpgm
	.section	.rodata,"a",@progbits
	.p2align	6, 0x0
	.amdhsa_kernel _Z21sort_key_value_kernelILj128ELj4EisN10test_utils4lessEEvPT1_PT2_T3_
		.amdhsa_group_segment_fixed_size 2052
		.amdhsa_private_segment_fixed_size 0
		.amdhsa_kernarg_size 20
		.amdhsa_user_sgpr_count 2
		.amdhsa_user_sgpr_dispatch_ptr 0
		.amdhsa_user_sgpr_queue_ptr 0
		.amdhsa_user_sgpr_kernarg_segment_ptr 1
		.amdhsa_user_sgpr_dispatch_id 0
		.amdhsa_user_sgpr_kernarg_preload_length 0
		.amdhsa_user_sgpr_kernarg_preload_offset 0
		.amdhsa_user_sgpr_private_segment_size 0
		.amdhsa_wavefront_size32 1
		.amdhsa_uses_dynamic_stack 0
		.amdhsa_enable_private_segment 0
		.amdhsa_system_sgpr_workgroup_id_x 1
		.amdhsa_system_sgpr_workgroup_id_y 0
		.amdhsa_system_sgpr_workgroup_id_z 0
		.amdhsa_system_sgpr_workgroup_info 0
		.amdhsa_system_vgpr_workitem_id 0
		.amdhsa_next_free_vgpr 30
		.amdhsa_next_free_sgpr 10
		.amdhsa_named_barrier_count 0
		.amdhsa_reserve_vcc 1
		.amdhsa_float_round_mode_32 0
		.amdhsa_float_round_mode_16_64 0
		.amdhsa_float_denorm_mode_32 3
		.amdhsa_float_denorm_mode_16_64 3
		.amdhsa_fp16_overflow 0
		.amdhsa_memory_ordered 1
		.amdhsa_forward_progress 1
		.amdhsa_inst_pref_size 54
		.amdhsa_round_robin_scheduling 0
		.amdhsa_exception_fp_ieee_invalid_op 0
		.amdhsa_exception_fp_denorm_src 0
		.amdhsa_exception_fp_ieee_div_zero 0
		.amdhsa_exception_fp_ieee_overflow 0
		.amdhsa_exception_fp_ieee_underflow 0
		.amdhsa_exception_fp_ieee_inexact 0
		.amdhsa_exception_int_div_zero 0
	.end_amdhsa_kernel
	.section	.text._Z21sort_key_value_kernelILj128ELj4EisN10test_utils4lessEEvPT1_PT2_T3_,"axG",@progbits,_Z21sort_key_value_kernelILj128ELj4EisN10test_utils4lessEEvPT1_PT2_T3_,comdat
.Lfunc_end14:
	.size	_Z21sort_key_value_kernelILj128ELj4EisN10test_utils4lessEEvPT1_PT2_T3_, .Lfunc_end14-_Z21sort_key_value_kernelILj128ELj4EisN10test_utils4lessEEvPT1_PT2_T3_
                                        ; -- End function
	.set _Z21sort_key_value_kernelILj128ELj4EisN10test_utils4lessEEvPT1_PT2_T3_.num_vgpr, 30
	.set _Z21sort_key_value_kernelILj128ELj4EisN10test_utils4lessEEvPT1_PT2_T3_.num_agpr, 0
	.set _Z21sort_key_value_kernelILj128ELj4EisN10test_utils4lessEEvPT1_PT2_T3_.numbered_sgpr, 10
	.set _Z21sort_key_value_kernelILj128ELj4EisN10test_utils4lessEEvPT1_PT2_T3_.num_named_barrier, 0
	.set _Z21sort_key_value_kernelILj128ELj4EisN10test_utils4lessEEvPT1_PT2_T3_.private_seg_size, 0
	.set _Z21sort_key_value_kernelILj128ELj4EisN10test_utils4lessEEvPT1_PT2_T3_.uses_vcc, 1
	.set _Z21sort_key_value_kernelILj128ELj4EisN10test_utils4lessEEvPT1_PT2_T3_.uses_flat_scratch, 0
	.set _Z21sort_key_value_kernelILj128ELj4EisN10test_utils4lessEEvPT1_PT2_T3_.has_dyn_sized_stack, 0
	.set _Z21sort_key_value_kernelILj128ELj4EisN10test_utils4lessEEvPT1_PT2_T3_.has_recursion, 0
	.set _Z21sort_key_value_kernelILj128ELj4EisN10test_utils4lessEEvPT1_PT2_T3_.has_indirect_call, 0
	.section	.AMDGPU.csdata,"",@progbits
; Kernel info:
; codeLenInByte = 6836
; TotalNumSgprs: 12
; NumVgprs: 30
; ScratchSize: 0
; MemoryBound: 0
; FloatMode: 240
; IeeeMode: 1
; LDSByteSize: 2052 bytes/workgroup (compile time only)
; SGPRBlocks: 0
; VGPRBlocks: 1
; NumSGPRsForWavesPerEU: 12
; NumVGPRsForWavesPerEU: 30
; NamedBarCnt: 0
; Occupancy: 16
; WaveLimiterHint : 0
; COMPUTE_PGM_RSRC2:SCRATCH_EN: 0
; COMPUTE_PGM_RSRC2:USER_SGPR: 2
; COMPUTE_PGM_RSRC2:TRAP_HANDLER: 0
; COMPUTE_PGM_RSRC2:TGID_X_EN: 1
; COMPUTE_PGM_RSRC2:TGID_Y_EN: 0
; COMPUTE_PGM_RSRC2:TGID_Z_EN: 0
; COMPUTE_PGM_RSRC2:TIDIG_COMP_CNT: 0
	.section	.text._Z21sort_key_value_kernelILj64ELj2E12hip_bfloat16S0_N10test_utils7greaterEEvPT1_PT2_T3_,"axG",@progbits,_Z21sort_key_value_kernelILj64ELj2E12hip_bfloat16S0_N10test_utils7greaterEEvPT1_PT2_T3_,comdat
	.protected	_Z21sort_key_value_kernelILj64ELj2E12hip_bfloat16S0_N10test_utils7greaterEEvPT1_PT2_T3_ ; -- Begin function _Z21sort_key_value_kernelILj64ELj2E12hip_bfloat16S0_N10test_utils7greaterEEvPT1_PT2_T3_
	.globl	_Z21sort_key_value_kernelILj64ELj2E12hip_bfloat16S0_N10test_utils7greaterEEvPT1_PT2_T3_
	.p2align	8
	.type	_Z21sort_key_value_kernelILj64ELj2E12hip_bfloat16S0_N10test_utils7greaterEEvPT1_PT2_T3_,@function
_Z21sort_key_value_kernelILj64ELj2E12hip_bfloat16S0_N10test_utils7greaterEEvPT1_PT2_T3_: ; @_Z21sort_key_value_kernelILj64ELj2E12hip_bfloat16S0_N10test_utils7greaterEEvPT1_PT2_T3_
; %bb.0:
	s_load_b128 s[4:7], s[0:1], 0x0
	s_wait_xcnt 0x0
	s_bfe_u32 s0, ttmp6, 0x4000c
	s_and_b32 s1, ttmp6, 15
	s_add_co_i32 s0, s0, 1
	s_getreg_b32 s2, hwreg(HW_REG_IB_STS2, 6, 4)
	s_mul_i32 s0, ttmp9, s0
	v_dual_mov_b32 v1, 0 :: v_dual_lshlrev_b32 v6, 1, v0
	s_add_co_i32 s1, s1, s0
	s_cmp_eq_u32 s2, 0
	s_cselect_b32 s0, ttmp9, s1
	s_mov_b32 s1, 0
	s_lshl_b32 s0, s0, 7
	v_and_b32_e32 v12, 0x7c, v6
	s_lshl_b64 s[8:9], s[0:1], 1
	s_delay_alu instid0(VALU_DEP_1)
	v_dual_add_nc_u32 v8, 4, v12 :: v_dual_bitop2_b32 v9, 2, v12 bitop3:0x54
	s_wait_kmcnt 0x0
	s_add_nc_u64 s[2:3], s[4:5], s[8:9]
	s_add_nc_u64 s[4:5], s[6:7], s[8:9]
	s_clause 0x1
	global_load_b32 v3, v0, s[2:3] scale_offset
	global_load_b32 v7, v0, s[4:5] scale_offset
	v_dual_sub_nc_u32 v4, v8, v9 :: v_dual_bitop2_b32 v10, 2, v6 bitop3:0x40
	s_wait_xcnt 0x0
	v_lshlrev_b32_e32 v0, 2, v0
	v_dual_lshlrev_b32 v11, 1, v12 :: v_dual_sub_nc_u32 v2, v9, v12
	s_mov_b32 s6, exec_lo
	v_sub_nc_u32_e32 v5, v10, v4
	v_cmp_ge_i32_e32 vcc_lo, v10, v4
	s_wait_loadcnt 0x0
	v_min_i32_e32 v2, v10, v2
	s_barrier_signal -1
	s_barrier_wait -1
	v_and_b32_e32 v13, 0xffff0000, v3
	v_lshlrev_b32_e32 v15, 16, v3
	v_alignbit_b32 v16, v3, v3, 16
	v_cndmask_b32_e32 v14, 0, v5, vcc_lo
	s_delay_alu instid0(VALU_DEP_3) | instskip(NEXT) | instid1(VALU_DEP_3)
	v_cmp_lt_f32_e32 vcc_lo, v15, v13
	v_cndmask_b32_e32 v3, v3, v16, vcc_lo
	ds_store_b32 v0, v3
	s_wait_dscnt 0x0
	s_barrier_signal -1
	s_barrier_wait -1
	v_cmpx_lt_i32_e64 v14, v2
	s_cbranch_execz .LBB15_4
; %bb.1:
	v_lshlrev_b32_e32 v3, 1, v10
	s_delay_alu instid0(VALU_DEP_1)
	v_lshl_add_u32 v3, v9, 1, v3
.LBB15_2:                               ; =>This Inner Loop Header: Depth=1
	v_sub_nc_u32_e32 v4, v2, v14
	s_delay_alu instid0(VALU_DEP_1) | instskip(NEXT) | instid1(VALU_DEP_1)
	v_lshrrev_b32_e32 v4, 1, v4
	v_add_nc_u32_e32 v4, v4, v14
	s_delay_alu instid0(VALU_DEP_1) | instskip(SKIP_1) | instid1(VALU_DEP_2)
	v_not_b32_e32 v5, v4
	v_lshl_add_u32 v13, v4, 1, v11
	v_lshl_add_u32 v5, v5, 1, v3
	ds_load_u16 v13, v13
	ds_load_u16 v5, v5
	s_wait_dscnt 0x1
	v_lshlrev_b32_e32 v13, 16, v13
	s_wait_dscnt 0x0
	v_lshlrev_b32_e32 v5, 16, v5
	s_delay_alu instid0(VALU_DEP_1) | instskip(SKIP_1) | instid1(VALU_DEP_1)
	v_cmp_lt_f32_e64 s0, v13, v5
	v_add_nc_u32_e32 v15, 1, v4
	v_dual_cndmask_b32 v14, v15, v14, s0 :: v_dual_cndmask_b32 v2, v2, v4, s0
	s_delay_alu instid0(VALU_DEP_1) | instskip(SKIP_1) | instid1(SALU_CYCLE_1)
	v_cmp_ge_i32_e64 s0, v14, v2
	s_or_b32 s1, s0, s1
	s_and_not1_b32 exec_lo, exec_lo, s1
	s_cbranch_execnz .LBB15_2
; %bb.3:
	s_or_b32 exec_lo, exec_lo, s1
.LBB15_4:
	s_delay_alu instid0(SALU_CYCLE_1) | instskip(SKIP_4) | instid1(VALU_DEP_2)
	s_or_b32 exec_lo, exec_lo, s6
	v_add_nc_u64_e32 v[2:3], s[2:3], v[0:1]
	v_add_nc_u64_e32 v[4:5], s[4:5], v[0:1]
	v_add_nc_u32_e32 v1, v9, v10
	v_lshl_add_u32 v18, v14, 1, v11
	v_dual_add_nc_u32 v12, v14, v12 :: v_dual_sub_nc_u32 v13, v1, v14
                                        ; implicit-def: $vgpr1
	s_delay_alu instid0(VALU_DEP_1) | instskip(NEXT) | instid1(VALU_DEP_2)
	v_cmp_le_i32_e64 s0, v9, v12
	v_lshlrev_b32_e32 v17, 1, v13
	v_cmp_gt_i32_e64 s2, v8, v13
	ds_load_u16 v10, v18
	ds_load_u16 v11, v17
	s_wait_dscnt 0x0
	v_dual_lshlrev_b32 v15, 16, v10 :: v_dual_lshlrev_b32 v16, 16, v11
	s_delay_alu instid0(VALU_DEP_1) | instskip(SKIP_1) | instid1(SALU_CYCLE_1)
	v_cmp_lt_f32_e64 s1, v15, v16
	s_or_b32 s0, s0, s1
	s_and_b32 s0, s2, s0
	s_delay_alu instid0(SALU_CYCLE_1) | instskip(NEXT) | instid1(SALU_CYCLE_1)
	s_xor_b32 s1, s0, -1
	s_and_saveexec_b32 s2, s1
	s_delay_alu instid0(SALU_CYCLE_1)
	s_xor_b32 s1, exec_lo, s2
	s_cbranch_execz .LBB15_6
; %bb.5:
	ds_load_u16 v1, v18 offset:2
                                        ; implicit-def: $vgpr17
	s_wait_dscnt 0x0
	v_lshlrev_b32_e32 v15, 16, v1
.LBB15_6:
	s_or_saveexec_b32 s1, s1
	v_mov_b32_e32 v14, v11
	s_xor_b32 exec_lo, exec_lo, s1
	s_cbranch_execz .LBB15_8
; %bb.7:
	ds_load_u16 v14, v17 offset:2
	s_wait_dscnt 0x0
	v_dual_mov_b32 v1, v10 :: v_dual_lshlrev_b32 v16, 16, v14
.LBB15_8:
	s_or_b32 exec_lo, exec_lo, s1
	v_dual_add_nc_u32 v17, 1, v12 :: v_dual_add_nc_u32 v18, 1, v13
	v_cndmask_b32_e64 v19, v12, v13, s0
	s_delay_alu instid0(VALU_DEP_3) | instskip(SKIP_1) | instid1(VALU_DEP_4)
	v_cmp_lt_f32_e64 s1, v15, v16
	v_alignbit_b32 v20, v7, v7, 16
	v_cndmask_b32_e64 v15, v17, v12, s0
	v_cndmask_b32_e64 v13, v13, v18, s0
	v_and_b32_e32 v12, 0x78, v6
	s_delay_alu instid0(VALU_DEP_4) | instskip(NEXT) | instid1(VALU_DEP_4)
	v_cndmask_b32_e32 v7, v7, v20, vcc_lo
	v_cmp_ge_i32_e64 s2, v15, v9
	s_delay_alu instid0(VALU_DEP_4)
	v_cmp_lt_i32_e32 vcc_lo, v13, v8
	s_barrier_signal -1
	s_barrier_wait -1
	s_or_b32 s1, s2, s1
	ds_store_b32 v0, v7
	s_and_b32 vcc_lo, vcc_lo, s1
	s_wait_dscnt 0x0
	v_dual_cndmask_b32 v14, v1, v14, vcc_lo :: v_dual_cndmask_b32 v8, v15, v13, vcc_lo
	v_lshlrev_b32_e32 v9, 1, v19
	s_barrier_signal -1
	s_barrier_wait -1
	v_dual_add_nc_u32 v7, 8, v12 :: v_dual_bitop2_b32 v1, 4, v12 bitop3:0x54
	v_lshlrev_b32_e32 v15, 1, v8
	ds_load_u16 v8, v9
	ds_load_u16 v9, v15
	v_dual_sub_nc_u32 v16, v7, v1 :: v_dual_bitop2_b32 v13, 6, v6 bitop3:0x40
	v_cndmask_b32_e64 v10, v10, v11, s0
	s_wait_dscnt 0x0
	s_barrier_signal -1
	s_barrier_wait -1
	v_sub_nc_u32_e32 v11, v13, v16
	v_cmp_ge_i32_e32 vcc_lo, v13, v16
	v_sub_nc_u32_e32 v17, v1, v12
	ds_store_b16 v0, v10
	ds_store_b16 v0, v14 offset:2
	v_dual_cndmask_b32 v15, 0, v11 :: v_dual_lshlrev_b32 v10, 1, v12
	v_min_i32_e32 v11, v13, v17
	s_mov_b32 s1, 0
	s_mov_b32 s0, exec_lo
	s_wait_dscnt 0x0
	s_barrier_signal -1
	s_barrier_wait -1
	v_cmpx_lt_i32_e64 v15, v11
	s_cbranch_execz .LBB15_12
; %bb.9:
	v_lshlrev_b32_e32 v14, 1, v13
	s_delay_alu instid0(VALU_DEP_1)
	v_lshl_add_u32 v14, v1, 1, v14
.LBB15_10:                              ; =>This Inner Loop Header: Depth=1
	v_sub_nc_u32_e32 v16, v11, v15
	s_delay_alu instid0(VALU_DEP_1) | instskip(NEXT) | instid1(VALU_DEP_1)
	v_lshrrev_b32_e32 v16, 1, v16
	v_add_nc_u32_e32 v16, v16, v15
	s_delay_alu instid0(VALU_DEP_1) | instskip(SKIP_1) | instid1(VALU_DEP_2)
	v_not_b32_e32 v17, v16
	v_lshl_add_u32 v18, v16, 1, v10
	v_lshl_add_u32 v17, v17, 1, v14
	ds_load_u16 v18, v18
	ds_load_u16 v17, v17
	s_wait_dscnt 0x0
	v_dual_lshlrev_b32 v18, 16, v18 :: v_dual_lshlrev_b32 v17, 16, v17
	s_delay_alu instid0(VALU_DEP_1) | instskip(SKIP_1) | instid1(VALU_DEP_1)
	v_cmp_lt_f32_e32 vcc_lo, v18, v17
	v_add_nc_u32_e32 v19, 1, v16
	v_cndmask_b32_e32 v15, v19, v15, vcc_lo
	v_cndmask_b32_e32 v11, v11, v16, vcc_lo
	s_delay_alu instid0(VALU_DEP_1) | instskip(SKIP_1) | instid1(SALU_CYCLE_1)
	v_cmp_ge_i32_e32 vcc_lo, v15, v11
	s_or_b32 s1, vcc_lo, s1
	s_and_not1_b32 exec_lo, exec_lo, s1
	s_cbranch_execnz .LBB15_10
; %bb.11:
	s_or_b32 exec_lo, exec_lo, s1
.LBB15_12:
	s_delay_alu instid0(SALU_CYCLE_1) | instskip(SKIP_2) | instid1(VALU_DEP_2)
	s_or_b32 exec_lo, exec_lo, s0
	v_add_nc_u32_e32 v11, v1, v13
	v_lshl_add_u32 v19, v15, 1, v10
                                        ; implicit-def: $vgpr13
	v_sub_nc_u32_e32 v14, v11, v15
	s_delay_alu instid0(VALU_DEP_1)
	v_lshlrev_b32_e32 v18, 1, v14
	ds_load_u16 v10, v19
	ds_load_u16 v11, v18
	s_wait_dscnt 0x1
	v_dual_add_nc_u32 v12, v15, v12 :: v_dual_lshlrev_b32 v16, 16, v10
	s_wait_dscnt 0x0
	v_lshlrev_b32_e32 v17, 16, v11
	s_delay_alu instid0(VALU_DEP_2) | instskip(SKIP_1) | instid1(VALU_DEP_3)
	v_cmp_le_i32_e32 vcc_lo, v1, v12
	v_cmp_gt_i32_e64 s1, v7, v14
	v_cmp_lt_f32_e64 s0, v16, v17
	s_or_b32 s0, vcc_lo, s0
	s_delay_alu instid0(SALU_CYCLE_1) | instskip(NEXT) | instid1(SALU_CYCLE_1)
	s_and_b32 vcc_lo, s1, s0
	s_xor_b32 s0, vcc_lo, -1
	s_delay_alu instid0(SALU_CYCLE_1) | instskip(NEXT) | instid1(SALU_CYCLE_1)
	s_and_saveexec_b32 s1, s0
	s_xor_b32 s0, exec_lo, s1
	s_cbranch_execz .LBB15_14
; %bb.13:
	ds_load_u16 v13, v19 offset:2
                                        ; implicit-def: $vgpr18
	s_wait_dscnt 0x0
	v_lshlrev_b32_e32 v16, 16, v13
.LBB15_14:
	s_or_saveexec_b32 s0, s0
	v_mov_b32_e32 v15, v11
	s_xor_b32 exec_lo, exec_lo, s0
	s_cbranch_execz .LBB15_16
; %bb.15:
	ds_load_u16 v15, v18 offset:2
	s_wait_dscnt 0x0
	v_dual_mov_b32 v13, v10 :: v_dual_lshlrev_b32 v17, 16, v15
.LBB15_16:
	s_or_b32 exec_lo, exec_lo, s0
	v_dual_add_nc_u32 v18, 1, v12 :: v_dual_add_nc_u32 v19, 1, v14
	v_cndmask_b32_e32 v20, v12, v14, vcc_lo
	s_delay_alu instid0(VALU_DEP_3) | instskip(NEXT) | instid1(VALU_DEP_3)
	v_cmp_lt_f32_e64 s0, v16, v17
	v_cndmask_b32_e32 v16, v18, v12, vcc_lo
	v_and_b32_e32 v12, 0x70, v6
	v_cndmask_b32_e32 v14, v14, v19, vcc_lo
	s_barrier_signal -1
	s_barrier_wait -1
	v_cmp_ge_i32_e64 s1, v16, v1
	v_or_b32_e32 v1, 8, v12
	v_cmp_lt_i32_e64 s2, v14, v7
	ds_store_b16 v0, v8
	ds_store_b16 v0, v9 offset:2
	s_or_b32 s0, s1, s0
	v_add_nc_u32_e32 v7, 16, v12
	s_and_b32 s0, s2, s0
	s_wait_dscnt 0x0
	v_dual_cndmask_b32 v17, v13, v15, s0 :: v_dual_cndmask_b32 v8, v16, v14, s0
	v_dual_lshlrev_b32 v9, 1, v20 :: v_dual_bitop2_b32 v13, 14, v6 bitop3:0x40
	v_sub_nc_u32_e32 v15, v7, v1
	s_barrier_signal -1
	s_delay_alu instid0(VALU_DEP_3)
	v_dual_lshlrev_b32 v14, 1, v8 :: v_dual_cndmask_b32 v10, v10, v11, vcc_lo
	s_barrier_wait -1
	ds_load_u16 v8, v9
	ds_load_u16 v9, v14
	s_wait_dscnt 0x0
	s_barrier_signal -1
	v_sub_nc_u32_e32 v11, v13, v15
	s_barrier_wait -1
	v_cmp_ge_i32_e32 vcc_lo, v13, v15
	ds_store_b16 v0, v10
	ds_store_b16 v0, v17 offset:2
	v_dual_lshlrev_b32 v10, 1, v12 :: v_dual_sub_nc_u32 v14, v1, v12
	s_mov_b32 s1, 0
	v_cndmask_b32_e32 v15, 0, v11, vcc_lo
	s_mov_b32 s0, exec_lo
	s_wait_dscnt 0x0
	v_min_i32_e32 v11, v13, v14
	s_barrier_signal -1
	s_barrier_wait -1
	s_delay_alu instid0(VALU_DEP_1)
	v_cmpx_lt_i32_e64 v15, v11
	s_cbranch_execz .LBB15_20
; %bb.17:
	v_lshlrev_b32_e32 v14, 1, v13
	s_delay_alu instid0(VALU_DEP_1)
	v_lshl_add_u32 v14, v1, 1, v14
.LBB15_18:                              ; =>This Inner Loop Header: Depth=1
	v_sub_nc_u32_e32 v16, v11, v15
	s_delay_alu instid0(VALU_DEP_1) | instskip(NEXT) | instid1(VALU_DEP_1)
	v_lshrrev_b32_e32 v16, 1, v16
	v_add_nc_u32_e32 v16, v16, v15
	s_delay_alu instid0(VALU_DEP_1) | instskip(SKIP_1) | instid1(VALU_DEP_2)
	v_not_b32_e32 v17, v16
	v_lshl_add_u32 v18, v16, 1, v10
	v_lshl_add_u32 v17, v17, 1, v14
	ds_load_u16 v18, v18
	ds_load_u16 v17, v17
	s_wait_dscnt 0x0
	v_dual_lshlrev_b32 v18, 16, v18 :: v_dual_lshlrev_b32 v17, 16, v17
	s_delay_alu instid0(VALU_DEP_1) | instskip(SKIP_1) | instid1(VALU_DEP_1)
	v_cmp_lt_f32_e32 vcc_lo, v18, v17
	v_add_nc_u32_e32 v19, 1, v16
	v_cndmask_b32_e32 v15, v19, v15, vcc_lo
	v_cndmask_b32_e32 v11, v11, v16, vcc_lo
	s_delay_alu instid0(VALU_DEP_1) | instskip(SKIP_1) | instid1(SALU_CYCLE_1)
	v_cmp_ge_i32_e32 vcc_lo, v15, v11
	s_or_b32 s1, vcc_lo, s1
	s_and_not1_b32 exec_lo, exec_lo, s1
	s_cbranch_execnz .LBB15_18
; %bb.19:
	s_or_b32 exec_lo, exec_lo, s1
.LBB15_20:
	s_delay_alu instid0(SALU_CYCLE_1) | instskip(SKIP_2) | instid1(VALU_DEP_2)
	s_or_b32 exec_lo, exec_lo, s0
	v_add_nc_u32_e32 v11, v1, v13
	v_lshl_add_u32 v19, v15, 1, v10
                                        ; implicit-def: $vgpr13
	v_sub_nc_u32_e32 v14, v11, v15
	s_delay_alu instid0(VALU_DEP_1)
	v_lshlrev_b32_e32 v18, 1, v14
	ds_load_u16 v10, v19
	ds_load_u16 v11, v18
	s_wait_dscnt 0x1
	v_dual_add_nc_u32 v12, v15, v12 :: v_dual_lshlrev_b32 v16, 16, v10
	s_wait_dscnt 0x0
	v_lshlrev_b32_e32 v17, 16, v11
	s_delay_alu instid0(VALU_DEP_2) | instskip(SKIP_1) | instid1(VALU_DEP_3)
	v_cmp_le_i32_e32 vcc_lo, v1, v12
	v_cmp_gt_i32_e64 s1, v7, v14
	v_cmp_lt_f32_e64 s0, v16, v17
	s_or_b32 s0, vcc_lo, s0
	s_delay_alu instid0(SALU_CYCLE_1) | instskip(NEXT) | instid1(SALU_CYCLE_1)
	s_and_b32 vcc_lo, s1, s0
	s_xor_b32 s0, vcc_lo, -1
	s_delay_alu instid0(SALU_CYCLE_1) | instskip(NEXT) | instid1(SALU_CYCLE_1)
	s_and_saveexec_b32 s1, s0
	s_xor_b32 s0, exec_lo, s1
	s_cbranch_execz .LBB15_22
; %bb.21:
	ds_load_u16 v13, v19 offset:2
                                        ; implicit-def: $vgpr18
	s_wait_dscnt 0x0
	v_lshlrev_b32_e32 v16, 16, v13
.LBB15_22:
	s_or_saveexec_b32 s0, s0
	v_mov_b32_e32 v15, v11
	s_xor_b32 exec_lo, exec_lo, s0
	s_cbranch_execz .LBB15_24
; %bb.23:
	ds_load_u16 v15, v18 offset:2
	s_wait_dscnt 0x0
	v_dual_mov_b32 v13, v10 :: v_dual_lshlrev_b32 v17, 16, v15
.LBB15_24:
	s_or_b32 exec_lo, exec_lo, s0
	v_dual_add_nc_u32 v18, 1, v12 :: v_dual_add_nc_u32 v19, 1, v14
	v_cndmask_b32_e32 v20, v12, v14, vcc_lo
	s_delay_alu instid0(VALU_DEP_3) | instskip(NEXT) | instid1(VALU_DEP_3)
	v_cmp_lt_f32_e64 s0, v16, v17
	v_cndmask_b32_e32 v16, v18, v12, vcc_lo
	v_and_b32_e32 v12, 0x60, v6
	v_cndmask_b32_e32 v14, v14, v19, vcc_lo
	s_barrier_signal -1
	s_barrier_wait -1
	v_cmp_ge_i32_e64 s1, v16, v1
	v_or_b32_e32 v1, 16, v12
	v_cmp_lt_i32_e64 s2, v14, v7
	ds_store_b16 v0, v8
	ds_store_b16 v0, v9 offset:2
	s_or_b32 s0, s1, s0
	v_add_nc_u32_e32 v7, 32, v12
	s_and_b32 s0, s2, s0
	s_wait_dscnt 0x0
	v_dual_cndmask_b32 v17, v13, v15, s0 :: v_dual_cndmask_b32 v8, v16, v14, s0
	v_dual_lshlrev_b32 v9, 1, v20 :: v_dual_bitop2_b32 v13, 30, v6 bitop3:0x40
	v_sub_nc_u32_e32 v15, v7, v1
	s_barrier_signal -1
	s_delay_alu instid0(VALU_DEP_3)
	v_dual_lshlrev_b32 v14, 1, v8 :: v_dual_cndmask_b32 v10, v10, v11, vcc_lo
	s_barrier_wait -1
	ds_load_u16 v8, v9
	ds_load_u16 v9, v14
	s_wait_dscnt 0x0
	s_barrier_signal -1
	v_sub_nc_u32_e32 v11, v13, v15
	s_barrier_wait -1
	v_cmp_ge_i32_e32 vcc_lo, v13, v15
	ds_store_b16 v0, v10
	ds_store_b16 v0, v17 offset:2
	v_dual_lshlrev_b32 v10, 1, v12 :: v_dual_sub_nc_u32 v14, v1, v12
	s_mov_b32 s1, 0
	v_cndmask_b32_e32 v15, 0, v11, vcc_lo
	s_mov_b32 s0, exec_lo
	s_wait_dscnt 0x0
	v_min_i32_e32 v11, v13, v14
	s_barrier_signal -1
	s_barrier_wait -1
	s_delay_alu instid0(VALU_DEP_1)
	v_cmpx_lt_i32_e64 v15, v11
	s_cbranch_execz .LBB15_28
; %bb.25:
	v_lshlrev_b32_e32 v14, 1, v13
	s_delay_alu instid0(VALU_DEP_1)
	v_lshl_add_u32 v14, v1, 1, v14
.LBB15_26:                              ; =>This Inner Loop Header: Depth=1
	v_sub_nc_u32_e32 v16, v11, v15
	s_delay_alu instid0(VALU_DEP_1) | instskip(NEXT) | instid1(VALU_DEP_1)
	v_lshrrev_b32_e32 v16, 1, v16
	v_add_nc_u32_e32 v16, v16, v15
	s_delay_alu instid0(VALU_DEP_1) | instskip(SKIP_1) | instid1(VALU_DEP_2)
	v_not_b32_e32 v17, v16
	v_lshl_add_u32 v18, v16, 1, v10
	v_lshl_add_u32 v17, v17, 1, v14
	ds_load_u16 v18, v18
	ds_load_u16 v17, v17
	s_wait_dscnt 0x0
	v_dual_lshlrev_b32 v18, 16, v18 :: v_dual_lshlrev_b32 v17, 16, v17
	s_delay_alu instid0(VALU_DEP_1) | instskip(SKIP_1) | instid1(VALU_DEP_1)
	v_cmp_lt_f32_e32 vcc_lo, v18, v17
	v_add_nc_u32_e32 v19, 1, v16
	v_cndmask_b32_e32 v15, v19, v15, vcc_lo
	v_cndmask_b32_e32 v11, v11, v16, vcc_lo
	s_delay_alu instid0(VALU_DEP_1) | instskip(SKIP_1) | instid1(SALU_CYCLE_1)
	v_cmp_ge_i32_e32 vcc_lo, v15, v11
	s_or_b32 s1, vcc_lo, s1
	s_and_not1_b32 exec_lo, exec_lo, s1
	s_cbranch_execnz .LBB15_26
; %bb.27:
	s_or_b32 exec_lo, exec_lo, s1
.LBB15_28:
	s_delay_alu instid0(SALU_CYCLE_1) | instskip(SKIP_2) | instid1(VALU_DEP_2)
	s_or_b32 exec_lo, exec_lo, s0
	v_add_nc_u32_e32 v11, v1, v13
	v_lshl_add_u32 v19, v15, 1, v10
                                        ; implicit-def: $vgpr13
	v_sub_nc_u32_e32 v14, v11, v15
	s_delay_alu instid0(VALU_DEP_1)
	v_lshlrev_b32_e32 v18, 1, v14
	ds_load_u16 v10, v19
	ds_load_u16 v11, v18
	s_wait_dscnt 0x1
	v_dual_add_nc_u32 v12, v15, v12 :: v_dual_lshlrev_b32 v16, 16, v10
	s_wait_dscnt 0x0
	v_lshlrev_b32_e32 v17, 16, v11
	s_delay_alu instid0(VALU_DEP_2) | instskip(SKIP_1) | instid1(VALU_DEP_3)
	v_cmp_le_i32_e32 vcc_lo, v1, v12
	v_cmp_gt_i32_e64 s1, v7, v14
	v_cmp_lt_f32_e64 s0, v16, v17
	s_or_b32 s0, vcc_lo, s0
	s_delay_alu instid0(SALU_CYCLE_1) | instskip(NEXT) | instid1(SALU_CYCLE_1)
	s_and_b32 vcc_lo, s1, s0
	s_xor_b32 s0, vcc_lo, -1
	s_delay_alu instid0(SALU_CYCLE_1) | instskip(NEXT) | instid1(SALU_CYCLE_1)
	s_and_saveexec_b32 s1, s0
	s_xor_b32 s0, exec_lo, s1
	s_cbranch_execz .LBB15_30
; %bb.29:
	ds_load_u16 v13, v19 offset:2
                                        ; implicit-def: $vgpr18
	s_wait_dscnt 0x0
	v_lshlrev_b32_e32 v16, 16, v13
.LBB15_30:
	s_or_saveexec_b32 s0, s0
	v_mov_b32_e32 v15, v11
	s_xor_b32 exec_lo, exec_lo, s0
	s_cbranch_execz .LBB15_32
; %bb.31:
	ds_load_u16 v15, v18 offset:2
	s_wait_dscnt 0x0
	v_dual_mov_b32 v13, v10 :: v_dual_lshlrev_b32 v17, 16, v15
.LBB15_32:
	s_or_b32 exec_lo, exec_lo, s0
	v_dual_add_nc_u32 v18, 1, v12 :: v_dual_add_nc_u32 v19, 1, v14
	v_cndmask_b32_e32 v20, v12, v14, vcc_lo
	s_delay_alu instid0(VALU_DEP_3) | instskip(NEXT) | instid1(VALU_DEP_3)
	v_cmp_lt_f32_e64 s0, v16, v17
	v_cndmask_b32_e32 v16, v18, v12, vcc_lo
	s_delay_alu instid0(VALU_DEP_4) | instskip(SKIP_2) | instid1(VALU_DEP_2)
	v_dual_cndmask_b32 v14, v14, v19, vcc_lo :: v_dual_bitop2_b32 v12, 64, v6 bitop3:0x40
	s_barrier_signal -1
	s_barrier_wait -1
	v_cmp_ge_i32_e64 s1, v16, v1
	s_delay_alu instid0(VALU_DEP_2)
	v_cmp_lt_i32_e64 s2, v14, v7
	ds_store_b16 v0, v8
	ds_store_b16 v0, v9 offset:2
	s_wait_dscnt 0x0
	s_or_b32 s0, s1, s0
	s_barrier_signal -1
	s_and_b32 s0, s2, s0
	s_barrier_wait -1
	v_dual_cndmask_b32 v15, v13, v15, s0 :: v_dual_cndmask_b32 v1, v16, v14, s0
	v_lshlrev_b32_e32 v7, 1, v20
	v_dual_add_nc_u32 v8, 64, v12 :: v_dual_bitop2_b32 v9, 32, v12 bitop3:0x54
	s_delay_alu instid0(VALU_DEP_3)
	v_dual_lshlrev_b32 v14, 1, v1 :: v_dual_bitop2_b32 v13, 62, v6 bitop3:0x40
	s_mov_b32 s1, 0
	ds_load_u16 v1, v7
	ds_load_u16 v7, v14
	v_dual_sub_nc_u32 v16, v8, v9 :: v_dual_cndmask_b32 v10, v10, v11, vcc_lo
	s_wait_dscnt 0x0
	s_barrier_signal -1
	s_barrier_wait -1
	s_delay_alu instid0(VALU_DEP_1)
	v_sub_nc_u32_e32 v11, v13, v16
	v_cmp_ge_i32_e32 vcc_lo, v13, v16
	v_sub_nc_u32_e32 v17, v9, v12
	ds_store_b16 v0, v10
	ds_store_b16 v0, v15 offset:2
	v_dual_lshlrev_b32 v10, 1, v12 :: v_dual_cndmask_b32 v14, 0, v11, vcc_lo
	v_min_i32_e32 v11, v13, v17
	s_mov_b32 s0, exec_lo
	s_wait_dscnt 0x0
	s_barrier_signal -1
	s_barrier_wait -1
	v_cmpx_lt_i32_e64 v14, v11
	s_cbranch_execz .LBB15_36
; %bb.33:
	v_lshlrev_b32_e32 v15, 1, v13
	s_delay_alu instid0(VALU_DEP_1)
	v_lshl_add_u32 v15, v9, 1, v15
.LBB15_34:                              ; =>This Inner Loop Header: Depth=1
	v_sub_nc_u32_e32 v16, v11, v14
	s_delay_alu instid0(VALU_DEP_1) | instskip(NEXT) | instid1(VALU_DEP_1)
	v_lshrrev_b32_e32 v16, 1, v16
	v_add_nc_u32_e32 v16, v16, v14
	s_delay_alu instid0(VALU_DEP_1) | instskip(SKIP_1) | instid1(VALU_DEP_2)
	v_not_b32_e32 v17, v16
	v_lshl_add_u32 v18, v16, 1, v10
	v_lshl_add_u32 v17, v17, 1, v15
	ds_load_u16 v18, v18
	ds_load_u16 v17, v17
	s_wait_dscnt 0x0
	v_dual_lshlrev_b32 v18, 16, v18 :: v_dual_lshlrev_b32 v17, 16, v17
	s_delay_alu instid0(VALU_DEP_1) | instskip(SKIP_1) | instid1(VALU_DEP_1)
	v_cmp_lt_f32_e32 vcc_lo, v18, v17
	v_add_nc_u32_e32 v19, 1, v16
	v_cndmask_b32_e32 v14, v19, v14, vcc_lo
	v_cndmask_b32_e32 v11, v11, v16, vcc_lo
	s_delay_alu instid0(VALU_DEP_1) | instskip(SKIP_1) | instid1(SALU_CYCLE_1)
	v_cmp_ge_i32_e32 vcc_lo, v14, v11
	s_or_b32 s1, vcc_lo, s1
	s_and_not1_b32 exec_lo, exec_lo, s1
	s_cbranch_execnz .LBB15_34
; %bb.35:
	s_or_b32 exec_lo, exec_lo, s1
.LBB15_36:
	s_delay_alu instid0(SALU_CYCLE_1) | instskip(SKIP_2) | instid1(VALU_DEP_2)
	s_or_b32 exec_lo, exec_lo, s0
	v_add_nc_u32_e32 v11, v9, v13
	v_lshl_add_u32 v18, v14, 1, v10
                                        ; implicit-def: $vgpr15
	v_dual_add_nc_u32 v12, v14, v12 :: v_dual_sub_nc_u32 v13, v11, v14
	s_delay_alu instid0(VALU_DEP_1) | instskip(NEXT) | instid1(VALU_DEP_2)
	v_cmp_le_i32_e32 vcc_lo, v9, v12
	v_lshlrev_b32_e32 v17, 1, v13
	v_cmp_gt_i32_e64 s1, v8, v13
	ds_load_u16 v10, v18
	ds_load_u16 v11, v17
	s_wait_dscnt 0x0
	v_dual_lshlrev_b32 v14, 16, v10 :: v_dual_lshlrev_b32 v16, 16, v11
	s_delay_alu instid0(VALU_DEP_1) | instskip(SKIP_1) | instid1(SALU_CYCLE_1)
	v_cmp_lt_f32_e64 s0, v14, v16
	s_or_b32 s0, vcc_lo, s0
	s_and_b32 vcc_lo, s1, s0
	s_delay_alu instid0(SALU_CYCLE_1) | instskip(NEXT) | instid1(SALU_CYCLE_1)
	s_xor_b32 s0, vcc_lo, -1
	s_and_saveexec_b32 s1, s0
	s_delay_alu instid0(SALU_CYCLE_1)
	s_xor_b32 s0, exec_lo, s1
	s_cbranch_execz .LBB15_38
; %bb.37:
	ds_load_u16 v15, v18 offset:2
                                        ; implicit-def: $vgpr17
	s_wait_dscnt 0x0
	v_lshlrev_b32_e32 v14, 16, v15
.LBB15_38:
	s_or_saveexec_b32 s0, s0
	v_mov_b32_e32 v18, v11
	s_xor_b32 exec_lo, exec_lo, s0
	s_cbranch_execz .LBB15_40
; %bb.39:
	ds_load_u16 v18, v17 offset:2
	s_wait_dscnt 0x0
	v_dual_mov_b32 v15, v10 :: v_dual_lshlrev_b32 v16, 16, v18
.LBB15_40:
	s_or_b32 exec_lo, exec_lo, s0
	v_dual_add_nc_u32 v17, 1, v12 :: v_dual_add_nc_u32 v19, 1, v13
	s_delay_alu instid0(VALU_DEP_2) | instskip(SKIP_1) | instid1(VALU_DEP_2)
	v_cmp_lt_f32_e64 s0, v14, v16
	s_barrier_signal -1
	v_cndmask_b32_e32 v17, v17, v12, vcc_lo
	s_delay_alu instid0(VALU_DEP_3)
	v_cndmask_b32_e32 v19, v13, v19, vcc_lo
	s_barrier_wait -1
	ds_store_b16 v0, v1
	ds_store_b16 v0, v7 offset:2
	v_cmp_ge_i32_e64 s1, v17, v9
	v_cmp_lt_i32_e64 s2, v19, v8
	v_cndmask_b32_e32 v9, v12, v13, vcc_lo
	s_wait_dscnt 0x0
	s_barrier_signal -1
	s_or_b32 s0, s1, s0
	s_barrier_wait -1
	s_and_b32 s0, s2, s0
	s_delay_alu instid0(SALU_CYCLE_1) | instskip(SKIP_2) | instid1(VALU_DEP_2)
	v_dual_cndmask_b32 v12, v15, v18, s0 :: v_dual_cndmask_b32 v8, v17, v19, s0
	v_lshlrev_b32_e32 v1, 1, v9
	s_mov_b32 s0, exec_lo
	v_dual_cndmask_b32 v10, v10, v11 :: v_dual_lshlrev_b32 v7, 1, v8
	v_and_b32_e32 v8, 0x7e, v6
	ds_load_u16 v1, v1
	ds_load_u16 v7, v7
	s_wait_dscnt 0x0
	v_sub_nc_u32_e64 v6, v8, 64 clamp
	v_min_i32_e32 v9, 64, v8
	s_barrier_signal -1
	s_barrier_wait -1
	ds_store_b16 v0, v10
	ds_store_b16 v0, v12 offset:2
	s_wait_dscnt 0x0
	s_barrier_signal -1
	s_barrier_wait -1
	v_cmpx_lt_i32_e64 v6, v9
	s_cbranch_execz .LBB15_44
; %bb.41:
	v_lshlrev_b32_e32 v10, 1, v8
	s_mov_b32 s1, 0
	s_delay_alu instid0(VALU_DEP_1)
	v_lshl_add_u32 v10, 64, 1, v10
.LBB15_42:                              ; =>This Inner Loop Header: Depth=1
	v_sub_nc_u32_e32 v11, v9, v6
	s_delay_alu instid0(VALU_DEP_1) | instskip(NEXT) | instid1(VALU_DEP_1)
	v_lshrrev_b32_e32 v11, 1, v11
	v_add_nc_u32_e32 v11, v11, v6
	s_delay_alu instid0(VALU_DEP_1) | instskip(SKIP_1) | instid1(VALU_DEP_2)
	v_not_b32_e32 v12, v11
	v_dual_lshlrev_b32 v13, 1, v11 :: v_dual_add_nc_u32 v14, 1, v11
	v_lshl_add_u32 v12, v12, 1, v10
	ds_load_u16 v13, v13
	ds_load_u16 v12, v12
	s_wait_dscnt 0x0
	v_dual_lshlrev_b32 v13, 16, v13 :: v_dual_lshlrev_b32 v12, 16, v12
	s_delay_alu instid0(VALU_DEP_1) | instskip(SKIP_1) | instid1(VALU_DEP_1)
	v_cmp_lt_f32_e32 vcc_lo, v13, v12
	v_dual_cndmask_b32 v6, v14, v6 :: v_dual_cndmask_b32 v9, v9, v11
	v_cmp_ge_i32_e32 vcc_lo, v6, v9
	s_or_b32 s1, vcc_lo, s1
	s_delay_alu instid0(SALU_CYCLE_1)
	s_and_not1_b32 exec_lo, exec_lo, s1
	s_cbranch_execnz .LBB15_42
; %bb.43:
	s_or_b32 exec_lo, exec_lo, s1
.LBB15_44:
	s_delay_alu instid0(SALU_CYCLE_1) | instskip(SKIP_2) | instid1(VALU_DEP_2)
	s_or_b32 exec_lo, exec_lo, s0
	v_dual_add_nc_u32 v8, 64, v8 :: v_dual_lshlrev_b32 v15, 1, v6
	v_cmp_gt_i32_e32 vcc_lo, 64, v6
                                        ; implicit-def: $vgpr12
                                        ; implicit-def: $vgpr11
	v_sub_nc_u32_e32 v8, v8, v6
	s_delay_alu instid0(VALU_DEP_1)
	v_lshlrev_b32_e32 v17, 1, v8
	ds_load_u16 v13, v15
	ds_load_u16 v9, v17
	s_wait_dscnt 0x1
	v_lshlrev_b32_e32 v10, 16, v13
	s_wait_dscnt 0x0
	v_lshlrev_b32_e32 v14, 16, v9
	v_cmp_lt_i32_e64 s1, 0x7f, v8
	s_delay_alu instid0(VALU_DEP_2) | instskip(SKIP_1) | instid1(SALU_CYCLE_1)
	v_cmp_nlt_f32_e64 s0, v10, v14
	s_and_b32 s0, vcc_lo, s0
	s_or_b32 s0, s1, s0
	s_delay_alu instid0(SALU_CYCLE_1) | instskip(NEXT) | instid1(SALU_CYCLE_1)
	s_and_saveexec_b32 s1, s0
	s_xor_b32 s0, exec_lo, s1
	s_cbranch_execz .LBB15_46
; %bb.45:
	ds_load_u16 v12, v15 offset:2
	v_add_nc_u32_e32 v11, 1, v6
                                        ; implicit-def: $vgpr17
	s_wait_dscnt 0x0
	v_lshlrev_b32_e32 v10, 16, v12
.LBB15_46:
	s_or_saveexec_b32 s0, s0
	v_dual_mov_b32 v15, v13 :: v_dual_mov_b32 v16, v6
	s_xor_b32 exec_lo, exec_lo, s0
	s_cbranch_execz .LBB15_48
; %bb.47:
	ds_load_u16 v17, v17 offset:2
	v_dual_mov_b32 v15, v9 :: v_dual_add_nc_u32 v14, 1, v8
	v_dual_mov_b32 v16, v8 :: v_dual_mov_b32 v11, v6
	s_delay_alu instid0(VALU_DEP_2)
	v_dual_mov_b32 v12, v13 :: v_dual_mov_b32 v8, v14
	s_wait_dscnt 0x0
	v_dual_mov_b32 v9, v17 :: v_dual_lshlrev_b32 v14, 16, v17
.LBB15_48:
	s_or_b32 exec_lo, exec_lo, s0
	v_cmp_le_i32_e32 vcc_lo, 64, v11
	s_delay_alu instid0(VALU_DEP_2) | instskip(SKIP_4) | instid1(SALU_CYCLE_1)
	v_cmp_lt_f32_e64 s0, v10, v14
	v_cmp_gt_i32_e64 s1, 0x80, v8
	s_barrier_signal -1
	s_barrier_wait -1
	s_or_b32 s0, vcc_lo, s0
	s_and_b32 vcc_lo, s1, s0
	ds_store_b16 v0, v1
	ds_store_b16 v0, v7 offset:2
	v_dual_cndmask_b32 v6, v12, v9, vcc_lo :: v_dual_cndmask_b32 v8, v11, v8, vcc_lo
	v_lshlrev_b32_e32 v0, 1, v16
	s_wait_dscnt 0x0
	s_barrier_signal -1
	s_barrier_wait -1
	v_lshlrev_b32_e32 v1, 1, v8
	ds_load_u16 v0, v0
	ds_load_u16 v1, v1
	v_perm_b32 v6, v6, v15, 0x5040100
	s_wait_dscnt 0x0
	v_perm_b32 v0, v1, v0, 0x5040100
	global_store_b32 v[2:3], v6, off
	global_store_b32 v[4:5], v0, off
	s_endpgm
	.section	.rodata,"a",@progbits
	.p2align	6, 0x0
	.amdhsa_kernel _Z21sort_key_value_kernelILj64ELj2E12hip_bfloat16S0_N10test_utils7greaterEEvPT1_PT2_T3_
		.amdhsa_group_segment_fixed_size 258
		.amdhsa_private_segment_fixed_size 0
		.amdhsa_kernarg_size 20
		.amdhsa_user_sgpr_count 2
		.amdhsa_user_sgpr_dispatch_ptr 0
		.amdhsa_user_sgpr_queue_ptr 0
		.amdhsa_user_sgpr_kernarg_segment_ptr 1
		.amdhsa_user_sgpr_dispatch_id 0
		.amdhsa_user_sgpr_kernarg_preload_length 0
		.amdhsa_user_sgpr_kernarg_preload_offset 0
		.amdhsa_user_sgpr_private_segment_size 0
		.amdhsa_wavefront_size32 1
		.amdhsa_uses_dynamic_stack 0
		.amdhsa_enable_private_segment 0
		.amdhsa_system_sgpr_workgroup_id_x 1
		.amdhsa_system_sgpr_workgroup_id_y 0
		.amdhsa_system_sgpr_workgroup_id_z 0
		.amdhsa_system_sgpr_workgroup_info 0
		.amdhsa_system_vgpr_workitem_id 0
		.amdhsa_next_free_vgpr 21
		.amdhsa_next_free_sgpr 10
		.amdhsa_named_barrier_count 0
		.amdhsa_reserve_vcc 1
		.amdhsa_float_round_mode_32 0
		.amdhsa_float_round_mode_16_64 0
		.amdhsa_float_denorm_mode_32 3
		.amdhsa_float_denorm_mode_16_64 3
		.amdhsa_fp16_overflow 0
		.amdhsa_memory_ordered 1
		.amdhsa_forward_progress 1
		.amdhsa_inst_pref_size 29
		.amdhsa_round_robin_scheduling 0
		.amdhsa_exception_fp_ieee_invalid_op 0
		.amdhsa_exception_fp_denorm_src 0
		.amdhsa_exception_fp_ieee_div_zero 0
		.amdhsa_exception_fp_ieee_overflow 0
		.amdhsa_exception_fp_ieee_underflow 0
		.amdhsa_exception_fp_ieee_inexact 0
		.amdhsa_exception_int_div_zero 0
	.end_amdhsa_kernel
	.section	.text._Z21sort_key_value_kernelILj64ELj2E12hip_bfloat16S0_N10test_utils7greaterEEvPT1_PT2_T3_,"axG",@progbits,_Z21sort_key_value_kernelILj64ELj2E12hip_bfloat16S0_N10test_utils7greaterEEvPT1_PT2_T3_,comdat
.Lfunc_end15:
	.size	_Z21sort_key_value_kernelILj64ELj2E12hip_bfloat16S0_N10test_utils7greaterEEvPT1_PT2_T3_, .Lfunc_end15-_Z21sort_key_value_kernelILj64ELj2E12hip_bfloat16S0_N10test_utils7greaterEEvPT1_PT2_T3_
                                        ; -- End function
	.set _Z21sort_key_value_kernelILj64ELj2E12hip_bfloat16S0_N10test_utils7greaterEEvPT1_PT2_T3_.num_vgpr, 21
	.set _Z21sort_key_value_kernelILj64ELj2E12hip_bfloat16S0_N10test_utils7greaterEEvPT1_PT2_T3_.num_agpr, 0
	.set _Z21sort_key_value_kernelILj64ELj2E12hip_bfloat16S0_N10test_utils7greaterEEvPT1_PT2_T3_.numbered_sgpr, 10
	.set _Z21sort_key_value_kernelILj64ELj2E12hip_bfloat16S0_N10test_utils7greaterEEvPT1_PT2_T3_.num_named_barrier, 0
	.set _Z21sort_key_value_kernelILj64ELj2E12hip_bfloat16S0_N10test_utils7greaterEEvPT1_PT2_T3_.private_seg_size, 0
	.set _Z21sort_key_value_kernelILj64ELj2E12hip_bfloat16S0_N10test_utils7greaterEEvPT1_PT2_T3_.uses_vcc, 1
	.set _Z21sort_key_value_kernelILj64ELj2E12hip_bfloat16S0_N10test_utils7greaterEEvPT1_PT2_T3_.uses_flat_scratch, 0
	.set _Z21sort_key_value_kernelILj64ELj2E12hip_bfloat16S0_N10test_utils7greaterEEvPT1_PT2_T3_.has_dyn_sized_stack, 0
	.set _Z21sort_key_value_kernelILj64ELj2E12hip_bfloat16S0_N10test_utils7greaterEEvPT1_PT2_T3_.has_recursion, 0
	.set _Z21sort_key_value_kernelILj64ELj2E12hip_bfloat16S0_N10test_utils7greaterEEvPT1_PT2_T3_.has_indirect_call, 0
	.section	.AMDGPU.csdata,"",@progbits
; Kernel info:
; codeLenInByte = 3688
; TotalNumSgprs: 12
; NumVgprs: 21
; ScratchSize: 0
; MemoryBound: 0
; FloatMode: 240
; IeeeMode: 1
; LDSByteSize: 258 bytes/workgroup (compile time only)
; SGPRBlocks: 0
; VGPRBlocks: 1
; NumSGPRsForWavesPerEU: 12
; NumVGPRsForWavesPerEU: 21
; NamedBarCnt: 0
; Occupancy: 16
; WaveLimiterHint : 0
; COMPUTE_PGM_RSRC2:SCRATCH_EN: 0
; COMPUTE_PGM_RSRC2:USER_SGPR: 2
; COMPUTE_PGM_RSRC2:TRAP_HANDLER: 0
; COMPUTE_PGM_RSRC2:TGID_X_EN: 1
; COMPUTE_PGM_RSRC2:TGID_Y_EN: 0
; COMPUTE_PGM_RSRC2:TGID_Z_EN: 0
; COMPUTE_PGM_RSRC2:TIDIG_COMP_CNT: 0
	.section	.text._Z21sort_key_value_kernelILj64ELj2E6__halfS0_N10test_utils7greaterEEvPT1_PT2_T3_,"axG",@progbits,_Z21sort_key_value_kernelILj64ELj2E6__halfS0_N10test_utils7greaterEEvPT1_PT2_T3_,comdat
	.protected	_Z21sort_key_value_kernelILj64ELj2E6__halfS0_N10test_utils7greaterEEvPT1_PT2_T3_ ; -- Begin function _Z21sort_key_value_kernelILj64ELj2E6__halfS0_N10test_utils7greaterEEvPT1_PT2_T3_
	.globl	_Z21sort_key_value_kernelILj64ELj2E6__halfS0_N10test_utils7greaterEEvPT1_PT2_T3_
	.p2align	8
	.type	_Z21sort_key_value_kernelILj64ELj2E6__halfS0_N10test_utils7greaterEEvPT1_PT2_T3_,@function
_Z21sort_key_value_kernelILj64ELj2E6__halfS0_N10test_utils7greaterEEvPT1_PT2_T3_: ; @_Z21sort_key_value_kernelILj64ELj2E6__halfS0_N10test_utils7greaterEEvPT1_PT2_T3_
; %bb.0:
	s_load_b128 s[4:7], s[0:1], 0x0
	s_wait_xcnt 0x0
	s_bfe_u32 s0, ttmp6, 0x4000c
	s_and_b32 s1, ttmp6, 15
	s_add_co_i32 s0, s0, 1
	s_getreg_b32 s2, hwreg(HW_REG_IB_STS2, 6, 4)
	s_mul_i32 s0, ttmp9, s0
	v_dual_mov_b32 v1, 0 :: v_dual_lshlrev_b32 v6, 1, v0
	s_add_co_i32 s1, s1, s0
	s_cmp_eq_u32 s2, 0
	s_cselect_b32 s0, ttmp9, s1
	s_mov_b32 s1, 0
	s_lshl_b32 s0, s0, 7
	v_and_b32_e32 v12, 0x7c, v6
	s_lshl_b64 s[8:9], s[0:1], 1
	s_delay_alu instid0(VALU_DEP_1)
	v_dual_add_nc_u32 v8, 4, v12 :: v_dual_bitop2_b32 v9, 2, v12 bitop3:0x54
	s_wait_kmcnt 0x0
	s_add_nc_u64 s[2:3], s[4:5], s[8:9]
	s_add_nc_u64 s[4:5], s[6:7], s[8:9]
	s_clause 0x1
	global_load_b32 v3, v0, s[2:3] scale_offset
	global_load_b32 v7, v0, s[4:5] scale_offset
	v_dual_sub_nc_u32 v4, v8, v9 :: v_dual_bitop2_b32 v10, 2, v6 bitop3:0x40
	s_wait_xcnt 0x0
	v_lshlrev_b32_e32 v0, 2, v0
	v_dual_lshlrev_b32 v11, 1, v12 :: v_dual_sub_nc_u32 v2, v9, v12
	s_mov_b32 s6, exec_lo
	v_sub_nc_u32_e32 v5, v10, v4
	v_cmp_ge_i32_e32 vcc_lo, v10, v4
	s_wait_loadcnt 0x0
	v_min_i32_e32 v2, v10, v2
	s_barrier_signal -1
	s_barrier_wait -1
	v_lshrrev_b32_e32 v14, 16, v3
	v_alignbit_b32 v15, v3, v3, 16
	v_cndmask_b32_e32 v13, 0, v5, vcc_lo
	s_delay_alu instid0(VALU_DEP_3) | instskip(NEXT) | instid1(VALU_DEP_3)
	v_cmp_lt_f16_e32 vcc_lo, v3, v14
	v_cndmask_b32_e32 v3, v3, v15, vcc_lo
	ds_store_b32 v0, v3
	s_wait_dscnt 0x0
	s_barrier_signal -1
	s_barrier_wait -1
	v_cmpx_lt_i32_e64 v13, v2
	s_cbranch_execz .LBB16_4
; %bb.1:
	v_lshlrev_b32_e32 v3, 1, v10
	s_delay_alu instid0(VALU_DEP_1)
	v_lshl_add_u32 v3, v9, 1, v3
.LBB16_2:                               ; =>This Inner Loop Header: Depth=1
	v_sub_nc_u32_e32 v4, v2, v13
	s_delay_alu instid0(VALU_DEP_1) | instskip(NEXT) | instid1(VALU_DEP_1)
	v_lshrrev_b32_e32 v4, 1, v4
	v_add_nc_u32_e32 v4, v4, v13
	s_delay_alu instid0(VALU_DEP_1) | instskip(SKIP_1) | instid1(VALU_DEP_2)
	v_not_b32_e32 v5, v4
	v_lshl_add_u32 v14, v4, 1, v11
	v_lshl_add_u32 v5, v5, 1, v3
	ds_load_u16 v14, v14
	ds_load_u16 v5, v5
	s_wait_dscnt 0x0
	v_cmp_gt_f16_e64 s0, v5, v14
	s_delay_alu instid0(VALU_DEP_1) | instskip(NEXT) | instid1(VALU_DEP_1)
	v_dual_add_nc_u32 v15, 1, v4 :: v_dual_cndmask_b32 v2, v2, v4, s0
	v_cndmask_b32_e64 v13, v15, v13, s0
	s_delay_alu instid0(VALU_DEP_1) | instskip(SKIP_1) | instid1(SALU_CYCLE_1)
	v_cmp_ge_i32_e64 s0, v13, v2
	s_or_b32 s1, s0, s1
	s_and_not1_b32 exec_lo, exec_lo, s1
	s_cbranch_execnz .LBB16_2
; %bb.3:
	s_or_b32 exec_lo, exec_lo, s1
.LBB16_4:
	s_delay_alu instid0(SALU_CYCLE_1)
	s_or_b32 exec_lo, exec_lo, s6
	v_add_nc_u64_e32 v[2:3], s[2:3], v[0:1]
	v_add_nc_u64_e32 v[4:5], s[4:5], v[0:1]
	v_add_nc_u32_e32 v1, v9, v10
	v_lshl_add_u32 v16, v13, 1, v11
	v_add_nc_u32_e32 v12, v13, v12
	s_delay_alu instid0(VALU_DEP_3) | instskip(NEXT) | instid1(VALU_DEP_2)
	v_sub_nc_u32_e32 v14, v1, v13
                                        ; implicit-def: $vgpr13
	v_cmp_le_i32_e64 s0, v9, v12
	s_delay_alu instid0(VALU_DEP_2)
	v_lshlrev_b32_e32 v15, 1, v14
	ds_load_u16 v10, v16
	ds_load_u16 v11, v15
	s_wait_dscnt 0x0
	v_cmp_gt_f16_e64 s1, v11, v10
	v_mov_b32_e32 v1, v11
	v_cmp_gt_i32_e64 s2, v8, v14
	s_or_b32 s0, s0, s1
	s_delay_alu instid0(SALU_CYCLE_1) | instskip(NEXT) | instid1(SALU_CYCLE_1)
	s_and_b32 s0, s2, s0
	s_xor_b32 s1, s0, -1
	s_delay_alu instid0(SALU_CYCLE_1) | instskip(NEXT) | instid1(SALU_CYCLE_1)
	s_and_saveexec_b32 s2, s1
	s_xor_b32 s1, exec_lo, s2
; %bb.5:
	ds_load_u16 v13, v16 offset:2
                                        ; implicit-def: $vgpr15
; %bb.6:
	s_and_not1_saveexec_b32 s1, s1
	s_cbranch_execz .LBB16_8
; %bb.7:
	ds_load_u16 v1, v15 offset:2
	s_wait_dscnt 0x1
	v_mov_b32_e32 v13, v10
.LBB16_8:
	s_or_b32 exec_lo, exec_lo, s1
	v_dual_add_nc_u32 v15, 1, v12 :: v_dual_add_nc_u32 v16, 1, v14
	v_cndmask_b32_e64 v17, v12, v14, s0
	v_alignbit_b32 v18, v7, v7, 16
	s_wait_dscnt 0x0
	v_cmp_gt_f16_e64 s1, v1, v13
	v_cndmask_b32_e64 v15, v15, v12, s0
	v_cndmask_b32_e64 v14, v14, v16, s0
	v_and_b32_e32 v12, 0x78, v6
	v_cndmask_b32_e32 v7, v7, v18, vcc_lo
	s_delay_alu instid0(VALU_DEP_4) | instskip(NEXT) | instid1(VALU_DEP_4)
	v_cmp_ge_i32_e64 s2, v15, v9
	v_cmp_lt_i32_e32 vcc_lo, v14, v8
	s_barrier_signal -1
	s_barrier_wait -1
	s_or_b32 s1, s2, s1
	ds_store_b32 v0, v7
	s_and_b32 vcc_lo, vcc_lo, s1
	s_wait_dscnt 0x0
	v_dual_cndmask_b32 v16, v13, v1, vcc_lo :: v_dual_cndmask_b32 v8, v15, v14, vcc_lo
	v_lshlrev_b32_e32 v9, 1, v17
	s_barrier_signal -1
	s_barrier_wait -1
	v_dual_add_nc_u32 v7, 8, v12 :: v_dual_bitop2_b32 v1, 4, v12 bitop3:0x54
	v_lshlrev_b32_e32 v14, 1, v8
	ds_load_u16 v8, v9
	ds_load_u16 v9, v14
	v_dual_sub_nc_u32 v15, v7, v1 :: v_dual_bitop2_b32 v13, 6, v6 bitop3:0x40
	v_dual_cndmask_b32 v10, v10, v11, s0 :: v_dual_sub_nc_u32 v17, v1, v12
	s_wait_dscnt 0x0
	s_barrier_signal -1
	s_delay_alu instid0(VALU_DEP_2)
	v_sub_nc_u32_e32 v11, v13, v15
	v_cmp_ge_i32_e32 vcc_lo, v13, v15
	s_barrier_wait -1
	ds_store_b16 v0, v10
	ds_store_b16 v0, v16 offset:2
	v_dual_lshlrev_b32 v10, 1, v12 :: v_dual_cndmask_b32 v14, 0, v11, vcc_lo
	v_min_i32_e32 v11, v13, v17
	s_mov_b32 s1, 0
	s_mov_b32 s0, exec_lo
	s_wait_dscnt 0x0
	s_barrier_signal -1
	s_barrier_wait -1
	v_cmpx_lt_i32_e64 v14, v11
	s_cbranch_execz .LBB16_12
; %bb.9:
	v_lshlrev_b32_e32 v15, 1, v13
	s_delay_alu instid0(VALU_DEP_1)
	v_lshl_add_u32 v15, v1, 1, v15
.LBB16_10:                              ; =>This Inner Loop Header: Depth=1
	v_sub_nc_u32_e32 v16, v11, v14
	s_delay_alu instid0(VALU_DEP_1) | instskip(NEXT) | instid1(VALU_DEP_1)
	v_lshrrev_b32_e32 v16, 1, v16
	v_add_nc_u32_e32 v16, v16, v14
	s_delay_alu instid0(VALU_DEP_1) | instskip(SKIP_1) | instid1(VALU_DEP_2)
	v_not_b32_e32 v17, v16
	v_lshl_add_u32 v18, v16, 1, v10
	v_lshl_add_u32 v17, v17, 1, v15
	ds_load_u16 v18, v18
	ds_load_u16 v17, v17
	s_wait_dscnt 0x0
	v_cmp_gt_f16_e32 vcc_lo, v17, v18
	v_dual_add_nc_u32 v19, 1, v16 :: v_dual_cndmask_b32 v11, v11, v16, vcc_lo
	s_delay_alu instid0(VALU_DEP_1) | instskip(NEXT) | instid1(VALU_DEP_1)
	v_cndmask_b32_e32 v14, v19, v14, vcc_lo
	v_cmp_ge_i32_e32 vcc_lo, v14, v11
	s_or_b32 s1, vcc_lo, s1
	s_delay_alu instid0(SALU_CYCLE_1)
	s_and_not1_b32 exec_lo, exec_lo, s1
	s_cbranch_execnz .LBB16_10
; %bb.11:
	s_or_b32 exec_lo, exec_lo, s1
.LBB16_12:
	s_delay_alu instid0(SALU_CYCLE_1) | instskip(SKIP_2) | instid1(VALU_DEP_2)
	s_or_b32 exec_lo, exec_lo, s0
	v_add_nc_u32_e32 v11, v1, v13
	v_lshl_add_u32 v17, v14, 1, v10
	v_dual_add_nc_u32 v12, v14, v12 :: v_dual_sub_nc_u32 v15, v11, v14
                                        ; implicit-def: $vgpr14
	s_delay_alu instid0(VALU_DEP_1) | instskip(NEXT) | instid1(VALU_DEP_2)
	v_cmp_le_i32_e32 vcc_lo, v1, v12
	v_lshlrev_b32_e32 v16, 1, v15
	v_cmp_gt_i32_e64 s1, v7, v15
	ds_load_u16 v10, v17
	ds_load_u16 v11, v16
	s_wait_dscnt 0x0
	v_cmp_gt_f16_e64 s0, v11, v10
	v_mov_b32_e32 v13, v11
	s_or_b32 s0, vcc_lo, s0
	s_delay_alu instid0(SALU_CYCLE_1) | instskip(NEXT) | instid1(SALU_CYCLE_1)
	s_and_b32 vcc_lo, s1, s0
	s_xor_b32 s0, vcc_lo, -1
	s_delay_alu instid0(SALU_CYCLE_1) | instskip(NEXT) | instid1(SALU_CYCLE_1)
	s_and_saveexec_b32 s1, s0
	s_xor_b32 s0, exec_lo, s1
; %bb.13:
	ds_load_u16 v14, v17 offset:2
                                        ; implicit-def: $vgpr16
; %bb.14:
	s_and_not1_saveexec_b32 s0, s0
	s_cbranch_execz .LBB16_16
; %bb.15:
	ds_load_u16 v13, v16 offset:2
	s_wait_dscnt 0x1
	v_mov_b32_e32 v14, v10
.LBB16_16:
	s_or_b32 exec_lo, exec_lo, s0
	v_dual_add_nc_u32 v16, 1, v12 :: v_dual_add_nc_u32 v17, 1, v15
	v_cndmask_b32_e32 v18, v12, v15, vcc_lo
	s_wait_dscnt 0x0
	v_cmp_gt_f16_e64 s0, v13, v14
	s_delay_alu instid0(VALU_DEP_3) | instskip(SKIP_3) | instid1(VALU_DEP_2)
	v_dual_cndmask_b32 v16, v16, v12 :: v_dual_cndmask_b32 v15, v15, v17
	v_and_b32_e32 v12, 0x70, v6
	s_barrier_signal -1
	s_barrier_wait -1
	v_cmp_ge_i32_e64 s1, v16, v1
	v_cmp_lt_i32_e64 s2, v15, v7
	ds_store_b16 v0, v8
	ds_store_b16 v0, v9 offset:2
	v_dual_add_nc_u32 v7, 16, v12 :: v_dual_lshlrev_b32 v9, 1, v18
	s_or_b32 s0, s1, s0
	s_wait_dscnt 0x0
	s_and_b32 s0, s2, s0
	s_delay_alu instid0(SALU_CYCLE_1) | instskip(SKIP_3) | instid1(VALU_DEP_1)
	v_dual_cndmask_b32 v17, v14, v13, s0 :: v_dual_bitop2_b32 v1, 8, v12 bitop3:0x54
	v_cndmask_b32_e64 v8, v16, v15, s0
	s_barrier_signal -1
	s_barrier_wait -1
	v_dual_lshlrev_b32 v14, 1, v8 :: v_dual_bitop2_b32 v13, 14, v6 bitop3:0x40
	v_dual_cndmask_b32 v10, v10, v11 :: v_dual_sub_nc_u32 v15, v7, v1
	ds_load_u16 v8, v9
	ds_load_u16 v9, v14
	s_wait_dscnt 0x0
	s_barrier_signal -1
	v_sub_nc_u32_e32 v11, v13, v15
	s_barrier_wait -1
	v_cmp_ge_i32_e32 vcc_lo, v13, v15
	ds_store_b16 v0, v10
	ds_store_b16 v0, v17 offset:2
	v_dual_lshlrev_b32 v10, 1, v12 :: v_dual_sub_nc_u32 v16, v1, v12
	s_mov_b32 s1, 0
	v_cndmask_b32_e32 v14, 0, v11, vcc_lo
	s_mov_b32 s0, exec_lo
	s_wait_dscnt 0x0
	v_min_i32_e32 v11, v13, v16
	s_barrier_signal -1
	s_barrier_wait -1
	s_delay_alu instid0(VALU_DEP_1)
	v_cmpx_lt_i32_e64 v14, v11
	s_cbranch_execz .LBB16_20
; %bb.17:
	v_lshlrev_b32_e32 v15, 1, v13
	s_delay_alu instid0(VALU_DEP_1)
	v_lshl_add_u32 v15, v1, 1, v15
.LBB16_18:                              ; =>This Inner Loop Header: Depth=1
	v_sub_nc_u32_e32 v16, v11, v14
	s_delay_alu instid0(VALU_DEP_1) | instskip(NEXT) | instid1(VALU_DEP_1)
	v_lshrrev_b32_e32 v16, 1, v16
	v_add_nc_u32_e32 v16, v16, v14
	s_delay_alu instid0(VALU_DEP_1) | instskip(SKIP_1) | instid1(VALU_DEP_2)
	v_not_b32_e32 v17, v16
	v_lshl_add_u32 v18, v16, 1, v10
	v_lshl_add_u32 v17, v17, 1, v15
	ds_load_u16 v18, v18
	ds_load_u16 v17, v17
	s_wait_dscnt 0x0
	v_cmp_gt_f16_e32 vcc_lo, v17, v18
	v_dual_add_nc_u32 v19, 1, v16 :: v_dual_cndmask_b32 v11, v11, v16, vcc_lo
	s_delay_alu instid0(VALU_DEP_1) | instskip(NEXT) | instid1(VALU_DEP_1)
	v_cndmask_b32_e32 v14, v19, v14, vcc_lo
	v_cmp_ge_i32_e32 vcc_lo, v14, v11
	s_or_b32 s1, vcc_lo, s1
	s_delay_alu instid0(SALU_CYCLE_1)
	s_and_not1_b32 exec_lo, exec_lo, s1
	s_cbranch_execnz .LBB16_18
; %bb.19:
	s_or_b32 exec_lo, exec_lo, s1
.LBB16_20:
	s_delay_alu instid0(SALU_CYCLE_1) | instskip(SKIP_2) | instid1(VALU_DEP_2)
	s_or_b32 exec_lo, exec_lo, s0
	v_add_nc_u32_e32 v11, v1, v13
	v_lshl_add_u32 v17, v14, 1, v10
	v_dual_add_nc_u32 v12, v14, v12 :: v_dual_sub_nc_u32 v15, v11, v14
                                        ; implicit-def: $vgpr14
	s_delay_alu instid0(VALU_DEP_1) | instskip(NEXT) | instid1(VALU_DEP_2)
	v_cmp_le_i32_e32 vcc_lo, v1, v12
	v_lshlrev_b32_e32 v16, 1, v15
	v_cmp_gt_i32_e64 s1, v7, v15
	ds_load_u16 v10, v17
	ds_load_u16 v11, v16
	s_wait_dscnt 0x0
	v_cmp_gt_f16_e64 s0, v11, v10
	v_mov_b32_e32 v13, v11
	s_or_b32 s0, vcc_lo, s0
	s_delay_alu instid0(SALU_CYCLE_1) | instskip(NEXT) | instid1(SALU_CYCLE_1)
	s_and_b32 vcc_lo, s1, s0
	s_xor_b32 s0, vcc_lo, -1
	s_delay_alu instid0(SALU_CYCLE_1) | instskip(NEXT) | instid1(SALU_CYCLE_1)
	s_and_saveexec_b32 s1, s0
	s_xor_b32 s0, exec_lo, s1
; %bb.21:
	ds_load_u16 v14, v17 offset:2
                                        ; implicit-def: $vgpr16
; %bb.22:
	s_and_not1_saveexec_b32 s0, s0
	s_cbranch_execz .LBB16_24
; %bb.23:
	ds_load_u16 v13, v16 offset:2
	s_wait_dscnt 0x1
	v_mov_b32_e32 v14, v10
.LBB16_24:
	s_or_b32 exec_lo, exec_lo, s0
	v_dual_add_nc_u32 v16, 1, v12 :: v_dual_add_nc_u32 v17, 1, v15
	v_cndmask_b32_e32 v18, v12, v15, vcc_lo
	s_wait_dscnt 0x0
	v_cmp_gt_f16_e64 s0, v13, v14
	s_delay_alu instid0(VALU_DEP_3) | instskip(SKIP_3) | instid1(VALU_DEP_2)
	v_dual_cndmask_b32 v16, v16, v12 :: v_dual_cndmask_b32 v15, v15, v17
	v_and_b32_e32 v12, 0x60, v6
	s_barrier_signal -1
	s_barrier_wait -1
	v_cmp_ge_i32_e64 s1, v16, v1
	v_cmp_lt_i32_e64 s2, v15, v7
	ds_store_b16 v0, v8
	ds_store_b16 v0, v9 offset:2
	v_dual_add_nc_u32 v7, 32, v12 :: v_dual_lshlrev_b32 v9, 1, v18
	s_or_b32 s0, s1, s0
	s_wait_dscnt 0x0
	s_and_b32 s0, s2, s0
	s_delay_alu instid0(SALU_CYCLE_1) | instskip(SKIP_3) | instid1(VALU_DEP_1)
	v_dual_cndmask_b32 v17, v14, v13, s0 :: v_dual_bitop2_b32 v1, 16, v12 bitop3:0x54
	v_cndmask_b32_e64 v8, v16, v15, s0
	s_barrier_signal -1
	s_barrier_wait -1
	v_dual_lshlrev_b32 v14, 1, v8 :: v_dual_bitop2_b32 v13, 30, v6 bitop3:0x40
	v_dual_cndmask_b32 v10, v10, v11 :: v_dual_sub_nc_u32 v15, v7, v1
	ds_load_u16 v8, v9
	ds_load_u16 v9, v14
	s_wait_dscnt 0x0
	s_barrier_signal -1
	v_sub_nc_u32_e32 v11, v13, v15
	s_barrier_wait -1
	v_cmp_ge_i32_e32 vcc_lo, v13, v15
	ds_store_b16 v0, v10
	ds_store_b16 v0, v17 offset:2
	v_dual_lshlrev_b32 v10, 1, v12 :: v_dual_sub_nc_u32 v16, v1, v12
	s_mov_b32 s1, 0
	v_cndmask_b32_e32 v14, 0, v11, vcc_lo
	s_mov_b32 s0, exec_lo
	s_wait_dscnt 0x0
	v_min_i32_e32 v11, v13, v16
	s_barrier_signal -1
	s_barrier_wait -1
	s_delay_alu instid0(VALU_DEP_1)
	v_cmpx_lt_i32_e64 v14, v11
	s_cbranch_execz .LBB16_28
; %bb.25:
	v_lshlrev_b32_e32 v15, 1, v13
	s_delay_alu instid0(VALU_DEP_1)
	v_lshl_add_u32 v15, v1, 1, v15
.LBB16_26:                              ; =>This Inner Loop Header: Depth=1
	v_sub_nc_u32_e32 v16, v11, v14
	s_delay_alu instid0(VALU_DEP_1) | instskip(NEXT) | instid1(VALU_DEP_1)
	v_lshrrev_b32_e32 v16, 1, v16
	v_add_nc_u32_e32 v16, v16, v14
	s_delay_alu instid0(VALU_DEP_1) | instskip(SKIP_1) | instid1(VALU_DEP_2)
	v_not_b32_e32 v17, v16
	v_lshl_add_u32 v18, v16, 1, v10
	v_lshl_add_u32 v17, v17, 1, v15
	ds_load_u16 v18, v18
	ds_load_u16 v17, v17
	s_wait_dscnt 0x0
	v_cmp_gt_f16_e32 vcc_lo, v17, v18
	v_dual_add_nc_u32 v19, 1, v16 :: v_dual_cndmask_b32 v11, v11, v16, vcc_lo
	s_delay_alu instid0(VALU_DEP_1) | instskip(NEXT) | instid1(VALU_DEP_1)
	v_cndmask_b32_e32 v14, v19, v14, vcc_lo
	v_cmp_ge_i32_e32 vcc_lo, v14, v11
	s_or_b32 s1, vcc_lo, s1
	s_delay_alu instid0(SALU_CYCLE_1)
	s_and_not1_b32 exec_lo, exec_lo, s1
	s_cbranch_execnz .LBB16_26
; %bb.27:
	s_or_b32 exec_lo, exec_lo, s1
.LBB16_28:
	s_delay_alu instid0(SALU_CYCLE_1) | instskip(SKIP_2) | instid1(VALU_DEP_2)
	s_or_b32 exec_lo, exec_lo, s0
	v_add_nc_u32_e32 v11, v1, v13
	v_lshl_add_u32 v17, v14, 1, v10
	v_dual_add_nc_u32 v12, v14, v12 :: v_dual_sub_nc_u32 v15, v11, v14
                                        ; implicit-def: $vgpr14
	s_delay_alu instid0(VALU_DEP_1) | instskip(NEXT) | instid1(VALU_DEP_2)
	v_cmp_le_i32_e32 vcc_lo, v1, v12
	v_lshlrev_b32_e32 v16, 1, v15
	v_cmp_gt_i32_e64 s1, v7, v15
	ds_load_u16 v10, v17
	ds_load_u16 v11, v16
	s_wait_dscnt 0x0
	v_cmp_gt_f16_e64 s0, v11, v10
	v_mov_b32_e32 v13, v11
	s_or_b32 s0, vcc_lo, s0
	s_delay_alu instid0(SALU_CYCLE_1) | instskip(NEXT) | instid1(SALU_CYCLE_1)
	s_and_b32 vcc_lo, s1, s0
	s_xor_b32 s0, vcc_lo, -1
	s_delay_alu instid0(SALU_CYCLE_1) | instskip(NEXT) | instid1(SALU_CYCLE_1)
	s_and_saveexec_b32 s1, s0
	s_xor_b32 s0, exec_lo, s1
; %bb.29:
	ds_load_u16 v14, v17 offset:2
                                        ; implicit-def: $vgpr16
; %bb.30:
	s_and_not1_saveexec_b32 s0, s0
	s_cbranch_execz .LBB16_32
; %bb.31:
	ds_load_u16 v13, v16 offset:2
	s_wait_dscnt 0x1
	v_mov_b32_e32 v14, v10
.LBB16_32:
	s_or_b32 exec_lo, exec_lo, s0
	v_dual_add_nc_u32 v16, 1, v12 :: v_dual_add_nc_u32 v17, 1, v15
	v_cndmask_b32_e32 v18, v12, v15, vcc_lo
	s_wait_dscnt 0x0
	v_cmp_gt_f16_e64 s0, v13, v14
	s_delay_alu instid0(VALU_DEP_3) | instskip(SKIP_3) | instid1(VALU_DEP_2)
	v_dual_cndmask_b32 v16, v16, v12, vcc_lo :: v_dual_bitop2_b32 v12, 64, v6 bitop3:0x40
	v_cndmask_b32_e32 v15, v15, v17, vcc_lo
	s_barrier_signal -1
	s_barrier_wait -1
	v_cmp_ge_i32_e64 s1, v16, v1
	s_delay_alu instid0(VALU_DEP_2)
	v_cmp_lt_i32_e64 s2, v15, v7
	ds_store_b16 v0, v8
	ds_store_b16 v0, v9 offset:2
	s_wait_dscnt 0x0
	s_or_b32 s0, s1, s0
	s_barrier_signal -1
	s_and_b32 s0, s2, s0
	s_barrier_wait -1
	v_dual_cndmask_b32 v17, v14, v13, s0 :: v_dual_cndmask_b32 v1, v16, v15, s0
	v_dual_lshlrev_b32 v7, 1, v18 :: v_dual_bitop2_b32 v9, 32, v12 bitop3:0x54
	v_add_nc_u32_e32 v8, 64, v12
	s_delay_alu instid0(VALU_DEP_3) | instskip(NEXT) | instid1(VALU_DEP_3)
	v_dual_lshlrev_b32 v14, 1, v1 :: v_dual_bitop2_b32 v13, 62, v6 bitop3:0x40
	v_dual_cndmask_b32 v10, v10, v11, vcc_lo :: v_dual_sub_nc_u32 v16, v9, v12
	ds_load_u16 v1, v7
	ds_load_u16 v7, v14
	v_sub_nc_u32_e32 v15, v8, v9
	s_wait_dscnt 0x0
	s_barrier_signal -1
	s_barrier_wait -1
	s_delay_alu instid0(VALU_DEP_1)
	v_sub_nc_u32_e32 v11, v13, v15
	v_cmp_ge_i32_e32 vcc_lo, v13, v15
	ds_store_b16 v0, v10
	ds_store_b16 v0, v17 offset:2
	v_lshlrev_b32_e32 v10, 1, v12
	s_mov_b32 s1, 0
	s_mov_b32 s0, exec_lo
	v_dual_cndmask_b32 v14, 0, v11 :: v_dual_min_i32 v11, v13, v16
	s_wait_dscnt 0x0
	s_barrier_signal -1
	s_barrier_wait -1
	s_delay_alu instid0(VALU_DEP_1)
	v_cmpx_lt_i32_e64 v14, v11
	s_cbranch_execz .LBB16_36
; %bb.33:
	v_lshlrev_b32_e32 v15, 1, v13
	s_delay_alu instid0(VALU_DEP_1)
	v_lshl_add_u32 v15, v9, 1, v15
.LBB16_34:                              ; =>This Inner Loop Header: Depth=1
	v_sub_nc_u32_e32 v16, v11, v14
	s_delay_alu instid0(VALU_DEP_1) | instskip(NEXT) | instid1(VALU_DEP_1)
	v_lshrrev_b32_e32 v16, 1, v16
	v_add_nc_u32_e32 v16, v16, v14
	s_delay_alu instid0(VALU_DEP_1) | instskip(SKIP_1) | instid1(VALU_DEP_2)
	v_not_b32_e32 v17, v16
	v_lshl_add_u32 v18, v16, 1, v10
	v_lshl_add_u32 v17, v17, 1, v15
	ds_load_u16 v18, v18
	ds_load_u16 v17, v17
	s_wait_dscnt 0x0
	v_cmp_gt_f16_e32 vcc_lo, v17, v18
	v_dual_add_nc_u32 v19, 1, v16 :: v_dual_cndmask_b32 v11, v11, v16, vcc_lo
	s_delay_alu instid0(VALU_DEP_1) | instskip(NEXT) | instid1(VALU_DEP_1)
	v_cndmask_b32_e32 v14, v19, v14, vcc_lo
	v_cmp_ge_i32_e32 vcc_lo, v14, v11
	s_or_b32 s1, vcc_lo, s1
	s_delay_alu instid0(SALU_CYCLE_1)
	s_and_not1_b32 exec_lo, exec_lo, s1
	s_cbranch_execnz .LBB16_34
; %bb.35:
	s_or_b32 exec_lo, exec_lo, s1
.LBB16_36:
	s_delay_alu instid0(SALU_CYCLE_1) | instskip(SKIP_2) | instid1(VALU_DEP_2)
	s_or_b32 exec_lo, exec_lo, s0
	v_add_nc_u32_e32 v11, v9, v13
	v_lshl_add_u32 v17, v14, 1, v10
                                        ; implicit-def: $vgpr15
	v_dual_sub_nc_u32 v13, v11, v14 :: v_dual_add_nc_u32 v14, v14, v12
	s_delay_alu instid0(VALU_DEP_1) | instskip(NEXT) | instid1(VALU_DEP_2)
	v_lshlrev_b32_e32 v16, 1, v13
	v_cmp_le_i32_e32 vcc_lo, v9, v14
	v_cmp_gt_i32_e64 s1, v8, v13
	ds_load_u16 v10, v17
	ds_load_u16 v11, v16
	s_wait_dscnt 0x0
	v_cmp_gt_f16_e64 s0, v11, v10
	v_mov_b32_e32 v12, v11
	s_or_b32 s0, vcc_lo, s0
	s_delay_alu instid0(SALU_CYCLE_1) | instskip(NEXT) | instid1(SALU_CYCLE_1)
	s_and_b32 vcc_lo, s1, s0
	s_xor_b32 s0, vcc_lo, -1
	s_delay_alu instid0(SALU_CYCLE_1) | instskip(NEXT) | instid1(SALU_CYCLE_1)
	s_and_saveexec_b32 s1, s0
	s_xor_b32 s0, exec_lo, s1
; %bb.37:
	ds_load_u16 v15, v17 offset:2
                                        ; implicit-def: $vgpr16
; %bb.38:
	s_and_not1_saveexec_b32 s0, s0
	s_cbranch_execz .LBB16_40
; %bb.39:
	ds_load_u16 v12, v16 offset:2
	s_wait_dscnt 0x1
	v_mov_b32_e32 v15, v10
.LBB16_40:
	s_or_b32 exec_lo, exec_lo, s0
	v_dual_add_nc_u32 v16, 1, v14 :: v_dual_add_nc_u32 v17, 1, v13
	s_wait_dscnt 0x0
	s_delay_alu instid0(VALU_DEP_2) | instskip(SKIP_1) | instid1(VALU_DEP_2)
	v_cmp_gt_f16_e64 s0, v12, v15
	s_barrier_signal -1
	v_dual_cndmask_b32 v16, v16, v14 :: v_dual_cndmask_b32 v17, v13, v17
	s_barrier_wait -1
	ds_store_b16 v0, v1
	ds_store_b16 v0, v7 offset:2
	v_cmp_ge_i32_e64 s1, v16, v9
	v_cmp_lt_i32_e64 s2, v17, v8
	s_wait_dscnt 0x0
	s_barrier_signal -1
	s_barrier_wait -1
	s_or_b32 s0, s1, s0
	s_delay_alu instid0(SALU_CYCLE_1) | instskip(NEXT) | instid1(SALU_CYCLE_1)
	s_and_b32 s0, s2, s0
	v_dual_cndmask_b32 v9, v14, v13, vcc_lo :: v_dual_cndmask_b32 v12, v15, v12, s0
	v_dual_cndmask_b32 v8, v16, v17, s0 :: v_dual_cndmask_b32 v10, v10, v11, vcc_lo
	s_mov_b32 s0, exec_lo
	s_delay_alu instid0(VALU_DEP_1)
	v_dual_lshlrev_b32 v1, 1, v9 :: v_dual_lshlrev_b32 v7, 1, v8
	v_and_b32_e32 v8, 0x7e, v6
	ds_load_u16 v1, v1
	ds_load_u16 v7, v7
	s_wait_dscnt 0x0
	v_sub_nc_u32_e64 v6, v8, 64 clamp
	v_min_i32_e32 v9, 64, v8
	s_barrier_signal -1
	s_barrier_wait -1
	ds_store_b16 v0, v10
	ds_store_b16 v0, v12 offset:2
	s_wait_dscnt 0x0
	s_barrier_signal -1
	s_barrier_wait -1
	v_cmpx_lt_i32_e64 v6, v9
	s_cbranch_execz .LBB16_44
; %bb.41:
	v_lshlrev_b32_e32 v10, 1, v8
	s_mov_b32 s1, 0
	s_delay_alu instid0(VALU_DEP_1)
	v_lshl_add_u32 v10, 64, 1, v10
.LBB16_42:                              ; =>This Inner Loop Header: Depth=1
	v_sub_nc_u32_e32 v11, v9, v6
	s_delay_alu instid0(VALU_DEP_1) | instskip(NEXT) | instid1(VALU_DEP_1)
	v_lshrrev_b32_e32 v11, 1, v11
	v_add_nc_u32_e32 v11, v11, v6
	s_delay_alu instid0(VALU_DEP_1) | instskip(SKIP_1) | instid1(VALU_DEP_2)
	v_not_b32_e32 v12, v11
	v_dual_lshlrev_b32 v13, 1, v11 :: v_dual_add_nc_u32 v14, 1, v11
	v_lshl_add_u32 v12, v12, 1, v10
	ds_load_u16 v13, v13
	ds_load_u16 v12, v12
	s_wait_dscnt 0x0
	v_cmp_gt_f16_e32 vcc_lo, v12, v13
	v_dual_cndmask_b32 v9, v9, v11 :: v_dual_cndmask_b32 v6, v14, v6
	s_delay_alu instid0(VALU_DEP_1) | instskip(SKIP_1) | instid1(SALU_CYCLE_1)
	v_cmp_ge_i32_e32 vcc_lo, v6, v9
	s_or_b32 s1, vcc_lo, s1
	s_and_not1_b32 exec_lo, exec_lo, s1
	s_cbranch_execnz .LBB16_42
; %bb.43:
	s_or_b32 exec_lo, exec_lo, s1
.LBB16_44:
	s_delay_alu instid0(SALU_CYCLE_1) | instskip(SKIP_2) | instid1(VALU_DEP_2)
	s_or_b32 exec_lo, exec_lo, s0
	v_dual_add_nc_u32 v8, 64, v8 :: v_dual_lshlrev_b32 v13, 1, v6
	v_cmp_gt_i32_e32 vcc_lo, 64, v6
                                        ; implicit-def: $vgpr11
                                        ; implicit-def: $vgpr10
	v_sub_nc_u32_e32 v8, v8, v6
	s_delay_alu instid0(VALU_DEP_1)
	v_lshlrev_b32_e32 v15, 1, v8
	v_cmp_lt_i32_e64 s1, 0x7f, v8
	ds_load_u16 v12, v13
	ds_load_u16 v9, v15
	s_wait_dscnt 0x0
	v_cmp_ngt_f16_e64 s0, v9, v12
	s_and_b32 s0, vcc_lo, s0
	s_delay_alu instid0(SALU_CYCLE_1) | instskip(NEXT) | instid1(SALU_CYCLE_1)
	s_or_b32 s0, s1, s0
	s_and_saveexec_b32 s1, s0
	s_delay_alu instid0(SALU_CYCLE_1)
	s_xor_b32 s0, exec_lo, s1
; %bb.45:
	ds_load_u16 v11, v13 offset:2
	v_add_nc_u32_e32 v10, 1, v6
                                        ; implicit-def: $vgpr15
; %bb.46:
	s_or_saveexec_b32 s0, s0
	v_dual_mov_b32 v13, v12 :: v_dual_mov_b32 v14, v6
	s_xor_b32 exec_lo, exec_lo, s0
	s_cbranch_execz .LBB16_48
; %bb.47:
	ds_load_u16 v15, v15 offset:2
	s_wait_dscnt 0x1
	v_dual_add_nc_u32 v11, 1, v8 :: v_dual_mov_b32 v13, v9
	v_dual_mov_b32 v14, v8 :: v_dual_mov_b32 v10, v6
	s_delay_alu instid0(VALU_DEP_2)
	v_dual_mov_b32 v8, v11 :: v_dual_mov_b32 v11, v12
	s_wait_dscnt 0x0
	v_mov_b32_e32 v9, v15
.LBB16_48:
	s_or_b32 exec_lo, exec_lo, s0
	v_cmp_le_i32_e32 vcc_lo, 64, v10
	s_wait_dscnt 0x0
	s_delay_alu instid0(VALU_DEP_2) | instskip(SKIP_4) | instid1(SALU_CYCLE_1)
	v_cmp_gt_f16_e64 s0, v9, v11
	v_cmp_gt_i32_e64 s1, 0x80, v8
	s_barrier_signal -1
	s_barrier_wait -1
	s_or_b32 s0, vcc_lo, s0
	s_and_b32 vcc_lo, s1, s0
	ds_store_b16 v0, v1
	ds_store_b16 v0, v7 offset:2
	v_dual_cndmask_b32 v6, v11, v9, vcc_lo :: v_dual_cndmask_b32 v8, v10, v8, vcc_lo
	v_lshlrev_b32_e32 v0, 1, v14
	s_wait_dscnt 0x0
	s_barrier_signal -1
	s_barrier_wait -1
	v_lshlrev_b32_e32 v1, 1, v8
	ds_load_u16 v0, v0
	ds_load_u16 v1, v1
	v_perm_b32 v6, v6, v13, 0x5040100
	s_wait_dscnt 0x0
	v_perm_b32 v0, v1, v0, 0x5040100
	global_store_b32 v[2:3], v6, off
	global_store_b32 v[4:5], v0, off
	s_endpgm
	.section	.rodata,"a",@progbits
	.p2align	6, 0x0
	.amdhsa_kernel _Z21sort_key_value_kernelILj64ELj2E6__halfS0_N10test_utils7greaterEEvPT1_PT2_T3_
		.amdhsa_group_segment_fixed_size 258
		.amdhsa_private_segment_fixed_size 0
		.amdhsa_kernarg_size 20
		.amdhsa_user_sgpr_count 2
		.amdhsa_user_sgpr_dispatch_ptr 0
		.amdhsa_user_sgpr_queue_ptr 0
		.amdhsa_user_sgpr_kernarg_segment_ptr 1
		.amdhsa_user_sgpr_dispatch_id 0
		.amdhsa_user_sgpr_kernarg_preload_length 0
		.amdhsa_user_sgpr_kernarg_preload_offset 0
		.amdhsa_user_sgpr_private_segment_size 0
		.amdhsa_wavefront_size32 1
		.amdhsa_uses_dynamic_stack 0
		.amdhsa_enable_private_segment 0
		.amdhsa_system_sgpr_workgroup_id_x 1
		.amdhsa_system_sgpr_workgroup_id_y 0
		.amdhsa_system_sgpr_workgroup_id_z 0
		.amdhsa_system_sgpr_workgroup_info 0
		.amdhsa_system_vgpr_workitem_id 0
		.amdhsa_next_free_vgpr 20
		.amdhsa_next_free_sgpr 10
		.amdhsa_named_barrier_count 0
		.amdhsa_reserve_vcc 1
		.amdhsa_float_round_mode_32 0
		.amdhsa_float_round_mode_16_64 0
		.amdhsa_float_denorm_mode_32 3
		.amdhsa_float_denorm_mode_16_64 3
		.amdhsa_fp16_overflow 0
		.amdhsa_memory_ordered 1
		.amdhsa_forward_progress 1
		.amdhsa_inst_pref_size 27
		.amdhsa_round_robin_scheduling 0
		.amdhsa_exception_fp_ieee_invalid_op 0
		.amdhsa_exception_fp_denorm_src 0
		.amdhsa_exception_fp_ieee_div_zero 0
		.amdhsa_exception_fp_ieee_overflow 0
		.amdhsa_exception_fp_ieee_underflow 0
		.amdhsa_exception_fp_ieee_inexact 0
		.amdhsa_exception_int_div_zero 0
	.end_amdhsa_kernel
	.section	.text._Z21sort_key_value_kernelILj64ELj2E6__halfS0_N10test_utils7greaterEEvPT1_PT2_T3_,"axG",@progbits,_Z21sort_key_value_kernelILj64ELj2E6__halfS0_N10test_utils7greaterEEvPT1_PT2_T3_,comdat
.Lfunc_end16:
	.size	_Z21sort_key_value_kernelILj64ELj2E6__halfS0_N10test_utils7greaterEEvPT1_PT2_T3_, .Lfunc_end16-_Z21sort_key_value_kernelILj64ELj2E6__halfS0_N10test_utils7greaterEEvPT1_PT2_T3_
                                        ; -- End function
	.set _Z21sort_key_value_kernelILj64ELj2E6__halfS0_N10test_utils7greaterEEvPT1_PT2_T3_.num_vgpr, 20
	.set _Z21sort_key_value_kernelILj64ELj2E6__halfS0_N10test_utils7greaterEEvPT1_PT2_T3_.num_agpr, 0
	.set _Z21sort_key_value_kernelILj64ELj2E6__halfS0_N10test_utils7greaterEEvPT1_PT2_T3_.numbered_sgpr, 10
	.set _Z21sort_key_value_kernelILj64ELj2E6__halfS0_N10test_utils7greaterEEvPT1_PT2_T3_.num_named_barrier, 0
	.set _Z21sort_key_value_kernelILj64ELj2E6__halfS0_N10test_utils7greaterEEvPT1_PT2_T3_.private_seg_size, 0
	.set _Z21sort_key_value_kernelILj64ELj2E6__halfS0_N10test_utils7greaterEEvPT1_PT2_T3_.uses_vcc, 1
	.set _Z21sort_key_value_kernelILj64ELj2E6__halfS0_N10test_utils7greaterEEvPT1_PT2_T3_.uses_flat_scratch, 0
	.set _Z21sort_key_value_kernelILj64ELj2E6__halfS0_N10test_utils7greaterEEvPT1_PT2_T3_.has_dyn_sized_stack, 0
	.set _Z21sort_key_value_kernelILj64ELj2E6__halfS0_N10test_utils7greaterEEvPT1_PT2_T3_.has_recursion, 0
	.set _Z21sort_key_value_kernelILj64ELj2E6__halfS0_N10test_utils7greaterEEvPT1_PT2_T3_.has_indirect_call, 0
	.section	.AMDGPU.csdata,"",@progbits
; Kernel info:
; codeLenInByte = 3448
; TotalNumSgprs: 12
; NumVgprs: 20
; ScratchSize: 0
; MemoryBound: 0
; FloatMode: 240
; IeeeMode: 1
; LDSByteSize: 258 bytes/workgroup (compile time only)
; SGPRBlocks: 0
; VGPRBlocks: 1
; NumSGPRsForWavesPerEU: 12
; NumVGPRsForWavesPerEU: 20
; NamedBarCnt: 0
; Occupancy: 16
; WaveLimiterHint : 0
; COMPUTE_PGM_RSRC2:SCRATCH_EN: 0
; COMPUTE_PGM_RSRC2:USER_SGPR: 2
; COMPUTE_PGM_RSRC2:TRAP_HANDLER: 0
; COMPUTE_PGM_RSRC2:TGID_X_EN: 1
; COMPUTE_PGM_RSRC2:TGID_Y_EN: 0
; COMPUTE_PGM_RSRC2:TGID_Z_EN: 0
; COMPUTE_PGM_RSRC2:TIDIG_COMP_CNT: 0
	.section	.text._Z21sort_key_value_kernelILj64ELj2EfcN10test_utils7greaterEEvPT1_PT2_T3_,"axG",@progbits,_Z21sort_key_value_kernelILj64ELj2EfcN10test_utils7greaterEEvPT1_PT2_T3_,comdat
	.protected	_Z21sort_key_value_kernelILj64ELj2EfcN10test_utils7greaterEEvPT1_PT2_T3_ ; -- Begin function _Z21sort_key_value_kernelILj64ELj2EfcN10test_utils7greaterEEvPT1_PT2_T3_
	.globl	_Z21sort_key_value_kernelILj64ELj2EfcN10test_utils7greaterEEvPT1_PT2_T3_
	.p2align	8
	.type	_Z21sort_key_value_kernelILj64ELj2EfcN10test_utils7greaterEEvPT1_PT2_T3_,@function
_Z21sort_key_value_kernelILj64ELj2EfcN10test_utils7greaterEEvPT1_PT2_T3_: ; @_Z21sort_key_value_kernelILj64ELj2EfcN10test_utils7greaterEEvPT1_PT2_T3_
; %bb.0:
	s_load_b128 s[4:7], s[0:1], 0x0
	s_wait_xcnt 0x0
	s_bfe_u32 s0, ttmp6, 0x4000c
	s_and_b32 s1, ttmp6, 15
	s_add_co_i32 s0, s0, 1
	s_getreg_b32 s2, hwreg(HW_REG_IB_STS2, 6, 4)
	s_mul_i32 s0, ttmp9, s0
	v_lshlrev_b32_e32 v6, 1, v0
	s_add_co_i32 s1, s1, s0
	s_cmp_eq_u32 s2, 0
	v_mov_b32_e32 v7, 0
	s_cselect_b32 s0, ttmp9, s1
	s_mov_b32 s1, 0
	s_lshl_b32 s0, s0, 7
	v_and_b32_e32 v14, 0x7c, v6
	s_lshl_b64 s[2:3], s[0:1], 2
	v_dual_mov_b32 v9, v7 :: v_dual_lshlrev_b32 v8, 3, v0
	s_delay_alu instid0(VALU_DEP_2)
	v_dual_add_nc_u32 v10, 4, v14 :: v_dual_bitop2_b32 v11, 2, v14 bitop3:0x54
	s_wait_kmcnt 0x0
	s_add_nc_u64 s[2:3], s[4:5], s[2:3]
	s_add_nc_u64 s[4:5], s[6:7], s[0:1]
	s_clause 0x1
	global_load_b64 v[4:5], v0, s[2:3] scale_offset
	global_load_u16 v1, v0, s[4:5] scale_offset
	v_dual_sub_nc_u32 v3, v10, v11 :: v_dual_bitop2_b32 v12, 2, v6 bitop3:0x40
	v_dual_sub_nc_u32 v2, v11, v14 :: v_dual_lshlrev_b32 v13, 2, v14
	s_mov_b32 s6, exec_lo
	s_wait_loadcnt 0x0
	s_delay_alu instid0(VALU_DEP_1) | instskip(SKIP_4) | instid1(VALU_DEP_2)
	v_dual_sub_nc_u32 v15, v12, v3 :: v_dual_min_i32 v2, v12, v2
	v_cmp_ge_i32_e64 s0, v12, v3
	s_barrier_signal -1
	s_barrier_wait -1
	v_cmp_gt_f32_e32 vcc_lo, v5, v4
	v_dual_cndmask_b32 v15, 0, v15, s0 :: v_dual_cndmask_b32 v3, v5, v4, vcc_lo
	v_cndmask_b32_e32 v4, v4, v5, vcc_lo
	ds_store_2addr_b32 v8, v4, v3 offset1:1
	s_wait_dscnt 0x0
	s_barrier_signal -1
	s_barrier_wait -1
	s_wait_xcnt 0x0
	v_cmpx_lt_i32_e64 v15, v2
	s_cbranch_execz .LBB17_4
; %bb.1:
	v_lshlrev_b32_e32 v3, 2, v12
	s_delay_alu instid0(VALU_DEP_1)
	v_lshl_add_u32 v3, v11, 2, v3
.LBB17_2:                               ; =>This Inner Loop Header: Depth=1
	v_sub_nc_u32_e32 v4, v2, v15
	s_delay_alu instid0(VALU_DEP_1) | instskip(NEXT) | instid1(VALU_DEP_1)
	v_lshrrev_b32_e32 v4, 1, v4
	v_add_nc_u32_e32 v4, v4, v15
	s_delay_alu instid0(VALU_DEP_1) | instskip(SKIP_1) | instid1(VALU_DEP_2)
	v_not_b32_e32 v5, v4
	v_lshl_add_u32 v16, v4, 2, v13
	v_lshl_add_u32 v5, v5, 2, v3
	ds_load_b32 v16, v16
	ds_load_b32 v5, v5
	s_wait_dscnt 0x0
	v_cmp_gt_f32_e64 s0, v5, v16
	s_delay_alu instid0(VALU_DEP_1) | instskip(NEXT) | instid1(VALU_DEP_1)
	v_dual_add_nc_u32 v17, 1, v4 :: v_dual_cndmask_b32 v2, v2, v4, s0
	v_cndmask_b32_e64 v15, v17, v15, s0
	s_delay_alu instid0(VALU_DEP_1) | instskip(SKIP_1) | instid1(SALU_CYCLE_1)
	v_cmp_ge_i32_e64 s0, v15, v2
	s_or_b32 s1, s0, s1
	s_and_not1_b32 exec_lo, exec_lo, s1
	s_cbranch_execnz .LBB17_2
; %bb.3:
	s_or_b32 exec_lo, exec_lo, s1
.LBB17_4:
	s_delay_alu instid0(SALU_CYCLE_1)
	s_or_b32 exec_lo, exec_lo, s6
	v_add_nc_u64_e32 v[4:5], s[4:5], v[6:7]
	v_add_nc_u32_e32 v7, v11, v12
	v_lshl_add_u32 v18, v15, 2, v13
	v_add_nc_u64_e32 v[2:3], s[2:3], v[8:9]
	v_lshrrev_b16 v9, 8, v1
	v_add_nc_u32_e32 v14, v15, v14
	v_sub_nc_u32_e32 v16, v7, v15
                                        ; implicit-def: $vgpr7
	s_delay_alu instid0(VALU_DEP_2) | instskip(NEXT) | instid1(VALU_DEP_2)
	v_cmp_le_i32_e64 s0, v11, v14
	v_lshlrev_b32_e32 v17, 2, v16
	ds_load_b32 v12, v18
	ds_load_b32 v13, v17
	v_cmp_gt_i32_e64 s2, v10, v16
	s_wait_dscnt 0x0
	v_cmp_gt_f32_e64 s1, v13, v12
	s_or_b32 s0, s0, s1
	s_delay_alu instid0(SALU_CYCLE_1) | instskip(NEXT) | instid1(SALU_CYCLE_1)
	s_and_b32 s0, s2, s0
	s_xor_b32 s1, s0, -1
	s_delay_alu instid0(SALU_CYCLE_1) | instskip(NEXT) | instid1(SALU_CYCLE_1)
	s_and_saveexec_b32 s2, s1
	s_xor_b32 s1, exec_lo, s2
; %bb.5:
	ds_load_b32 v7, v18 offset:4
                                        ; implicit-def: $vgpr17
; %bb.6:
	s_or_saveexec_b32 s1, s1
	v_mov_b32_e32 v15, v13
	s_xor_b32 exec_lo, exec_lo, s1
	s_cbranch_execz .LBB17_8
; %bb.7:
	ds_load_b32 v15, v17 offset:4
	s_wait_dscnt 0x1
	v_mov_b32_e32 v7, v12
.LBB17_8:
	s_or_b32 exec_lo, exec_lo, s1
	v_dual_add_nc_u32 v17, 1, v14 :: v_dual_add_nc_u32 v18, 1, v16
	v_cndmask_b32_e64 v19, v14, v16, s0
	v_lshlrev_b16 v20, 8, v1
	s_wait_dscnt 0x0
	v_cmp_gt_f32_e64 s1, v15, v7
	v_cndmask_b32_e64 v17, v17, v14, s0
	v_cndmask_b32_e64 v16, v16, v18, s0
	v_perm_b32 v1, v1, v9, 0xc0c0004
	v_or_b32_e32 v9, v9, v20
	v_and_b32_e32 v14, 0x78, v6
	v_cmp_ge_i32_e64 s2, v17, v11
	v_cmp_lt_i32_e64 s3, v16, v10
	v_mad_i32_i24 v10, v0, -6, v8
	v_cndmask_b32_e32 v1, v1, v9, vcc_lo
	s_or_b32 s1, s2, s1
	s_barrier_signal -1
	s_and_b32 vcc_lo, s3, s1
	s_barrier_wait -1
	v_dual_cndmask_b32 v18, v7, v15 :: v_dual_cndmask_b32 v15, v17, v16
	v_or_b32_e32 v7, 4, v14
	ds_store_b16 v10, v1
	s_wait_dscnt 0x0
	v_dual_add_nc_u32 v1, 8, v14 :: v_dual_cndmask_b32 v12, v12, v13, s0
	s_barrier_signal -1
	s_barrier_wait -1
	ds_load_u8 v9, v19
	ds_load_u8 v10, v15
	v_dual_sub_nc_u32 v16, v1, v7 :: v_dual_bitop2_b32 v11, 6, v6 bitop3:0x40
	s_wait_dscnt 0x0
	s_barrier_signal -1
	s_barrier_wait -1
	s_delay_alu instid0(VALU_DEP_1)
	v_cmp_ge_i32_e32 vcc_lo, v11, v16
	v_sub_nc_u32_e32 v15, v7, v14
	v_sub_nc_u32_e32 v13, v11, v16
	ds_store_2addr_b32 v8, v12, v18 offset1:1
	v_lshlrev_b32_e32 v12, 2, v14
	s_mov_b32 s1, 0
	v_dual_cndmask_b32 v13, 0, v13, vcc_lo :: v_dual_min_i32 v15, v11, v15
	s_mov_b32 s0, exec_lo
	s_wait_dscnt 0x0
	s_barrier_signal -1
	s_barrier_wait -1
	v_cmpx_lt_i32_e64 v13, v15
	s_cbranch_execz .LBB17_12
; %bb.9:
	v_lshlrev_b32_e32 v16, 2, v11
	s_delay_alu instid0(VALU_DEP_1)
	v_lshl_add_u32 v16, v7, 2, v16
.LBB17_10:                              ; =>This Inner Loop Header: Depth=1
	v_sub_nc_u32_e32 v17, v15, v13
	s_delay_alu instid0(VALU_DEP_1) | instskip(NEXT) | instid1(VALU_DEP_1)
	v_lshrrev_b32_e32 v17, 1, v17
	v_add_nc_u32_e32 v17, v17, v13
	s_delay_alu instid0(VALU_DEP_1) | instskip(SKIP_1) | instid1(VALU_DEP_2)
	v_not_b32_e32 v18, v17
	v_lshl_add_u32 v19, v17, 2, v12
	v_lshl_add_u32 v18, v18, 2, v16
	ds_load_b32 v19, v19
	ds_load_b32 v18, v18
	s_wait_dscnt 0x0
	v_cmp_gt_f32_e32 vcc_lo, v18, v19
	v_dual_cndmask_b32 v15, v15, v17 :: v_dual_add_nc_u32 v20, 1, v17
	s_delay_alu instid0(VALU_DEP_1) | instskip(NEXT) | instid1(VALU_DEP_1)
	v_cndmask_b32_e32 v13, v20, v13, vcc_lo
	v_cmp_ge_i32_e32 vcc_lo, v13, v15
	s_or_b32 s1, vcc_lo, s1
	s_delay_alu instid0(SALU_CYCLE_1)
	s_and_not1_b32 exec_lo, exec_lo, s1
	s_cbranch_execnz .LBB17_10
; %bb.11:
	s_or_b32 exec_lo, exec_lo, s1
.LBB17_12:
	s_delay_alu instid0(SALU_CYCLE_1) | instskip(SKIP_3) | instid1(VALU_DEP_3)
	s_or_b32 exec_lo, exec_lo, s0
	v_add_nc_u32_e32 v11, v7, v11
	v_lshl_add_u32 v16, v13, 2, v12
	v_mul_i32_i24_e32 v0, -6, v0
	v_dual_sub_nc_u32 v15, v11, v13 :: v_dual_add_nc_u32 v13, v13, v14
                                        ; implicit-def: $vgpr14
	s_delay_alu instid0(VALU_DEP_1) | instskip(NEXT) | instid1(VALU_DEP_2)
	v_lshlrev_b32_e32 v17, 2, v15
	v_cmp_le_i32_e32 vcc_lo, v7, v13
	v_cmp_gt_i32_e64 s1, v1, v15
	ds_load_b32 v11, v16
	ds_load_b32 v12, v17
	s_wait_dscnt 0x0
	v_cmp_gt_f32_e64 s0, v12, v11
	s_or_b32 s0, vcc_lo, s0
	s_delay_alu instid0(SALU_CYCLE_1) | instskip(NEXT) | instid1(SALU_CYCLE_1)
	s_and_b32 vcc_lo, s1, s0
	s_xor_b32 s0, vcc_lo, -1
	s_delay_alu instid0(SALU_CYCLE_1) | instskip(NEXT) | instid1(SALU_CYCLE_1)
	s_and_saveexec_b32 s1, s0
	s_xor_b32 s0, exec_lo, s1
; %bb.13:
	ds_load_b32 v14, v16 offset:4
                                        ; implicit-def: $vgpr17
; %bb.14:
	s_or_saveexec_b32 s0, s0
	v_mov_b32_e32 v16, v12
	s_xor_b32 exec_lo, exec_lo, s0
	s_cbranch_execz .LBB17_16
; %bb.15:
	ds_load_b32 v16, v17 offset:4
	s_wait_dscnt 0x1
	v_mov_b32_e32 v14, v11
.LBB17_16:
	s_or_b32 exec_lo, exec_lo, s0
	v_dual_add_nc_u32 v17, 1, v13 :: v_dual_add_nc_u32 v18, 1, v15
	v_cndmask_b32_e32 v19, v13, v15, vcc_lo
	s_wait_dscnt 0x0
	v_cmp_gt_f32_e64 s0, v16, v14
	v_lshlrev_b16 v10, 8, v10
	v_dual_cndmask_b32 v17, v17, v13, vcc_lo :: v_dual_cndmask_b32 v15, v15, v18, vcc_lo
	v_and_b32_e32 v13, 0x70, v6
	s_barrier_signal -1
	s_delay_alu instid0(VALU_DEP_2) | instskip(NEXT) | instid1(VALU_DEP_3)
	v_cmp_ge_i32_e64 s1, v17, v7
	v_cmp_lt_i32_e64 s2, v15, v1
	v_add_nc_u32_e32 v7, v8, v0
	v_bitop3_b16 v0, v9, v10, 0xff bitop3:0xec
	s_barrier_wait -1
	s_or_b32 s0, s1, s0
	s_delay_alu instid0(SALU_CYCLE_1)
	s_and_b32 s0, s2, s0
	ds_store_b16 v7, v0
	v_dual_cndmask_b32 v16, v14, v16, s0 :: v_dual_cndmask_b32 v10, v17, v15, s0
	s_wait_dscnt 0x0
	v_dual_add_nc_u32 v0, 16, v13 :: v_dual_bitop2_b32 v1, 8, v13 bitop3:0x54
	s_barrier_signal -1
	s_barrier_wait -1
	ds_load_u8 v9, v19
	ds_load_u8 v10, v10
	v_dual_sub_nc_u32 v15, v0, v1 :: v_dual_bitop2_b32 v14, 14, v6 bitop3:0x40
	v_cndmask_b32_e32 v11, v11, v12, vcc_lo
	s_wait_dscnt 0x0
	s_barrier_signal -1
	s_barrier_wait -1
	v_sub_nc_u32_e32 v12, v14, v15
	v_cmp_ge_i32_e32 vcc_lo, v14, v15
	v_sub_nc_u32_e32 v17, v1, v13
	ds_store_2addr_b32 v8, v11, v16 offset1:1
	v_dual_lshlrev_b32 v11, 2, v13 :: v_dual_cndmask_b32 v15, 0, v12, vcc_lo
	v_min_i32_e32 v12, v14, v17
	s_mov_b32 s1, 0
	s_mov_b32 s0, exec_lo
	s_wait_dscnt 0x0
	s_barrier_signal -1
	s_barrier_wait -1
	v_cmpx_lt_i32_e64 v15, v12
	s_cbranch_execz .LBB17_20
; %bb.17:
	v_lshlrev_b32_e32 v16, 2, v14
	s_delay_alu instid0(VALU_DEP_1)
	v_lshl_add_u32 v16, v1, 2, v16
.LBB17_18:                              ; =>This Inner Loop Header: Depth=1
	v_sub_nc_u32_e32 v17, v12, v15
	s_delay_alu instid0(VALU_DEP_1) | instskip(NEXT) | instid1(VALU_DEP_1)
	v_lshrrev_b32_e32 v17, 1, v17
	v_add_nc_u32_e32 v17, v17, v15
	s_delay_alu instid0(VALU_DEP_1) | instskip(SKIP_1) | instid1(VALU_DEP_2)
	v_not_b32_e32 v18, v17
	v_lshl_add_u32 v19, v17, 2, v11
	v_lshl_add_u32 v18, v18, 2, v16
	ds_load_b32 v19, v19
	ds_load_b32 v18, v18
	s_wait_dscnt 0x0
	v_cmp_gt_f32_e32 vcc_lo, v18, v19
	v_dual_add_nc_u32 v20, 1, v17 :: v_dual_cndmask_b32 v12, v12, v17, vcc_lo
	s_delay_alu instid0(VALU_DEP_1) | instskip(NEXT) | instid1(VALU_DEP_1)
	v_cndmask_b32_e32 v15, v20, v15, vcc_lo
	v_cmp_ge_i32_e32 vcc_lo, v15, v12
	s_or_b32 s1, vcc_lo, s1
	s_delay_alu instid0(SALU_CYCLE_1)
	s_and_not1_b32 exec_lo, exec_lo, s1
	s_cbranch_execnz .LBB17_18
; %bb.19:
	s_or_b32 exec_lo, exec_lo, s1
.LBB17_20:
	s_delay_alu instid0(SALU_CYCLE_1) | instskip(SKIP_2) | instid1(VALU_DEP_2)
	s_or_b32 exec_lo, exec_lo, s0
	v_add_nc_u32_e32 v12, v1, v14
	v_lshl_add_u32 v18, v15, 2, v11
                                        ; implicit-def: $vgpr14
	v_dual_add_nc_u32 v13, v15, v13 :: v_dual_sub_nc_u32 v16, v12, v15
	s_delay_alu instid0(VALU_DEP_1) | instskip(NEXT) | instid1(VALU_DEP_2)
	v_cmp_le_i32_e32 vcc_lo, v1, v13
	v_lshlrev_b32_e32 v17, 2, v16
	v_cmp_gt_i32_e64 s1, v0, v16
	ds_load_b32 v11, v18
	ds_load_b32 v12, v17
	s_wait_dscnt 0x0
	v_cmp_gt_f32_e64 s0, v12, v11
	s_or_b32 s0, vcc_lo, s0
	s_delay_alu instid0(SALU_CYCLE_1) | instskip(NEXT) | instid1(SALU_CYCLE_1)
	s_and_b32 vcc_lo, s1, s0
	s_xor_b32 s0, vcc_lo, -1
	s_delay_alu instid0(SALU_CYCLE_1) | instskip(NEXT) | instid1(SALU_CYCLE_1)
	s_and_saveexec_b32 s1, s0
	s_xor_b32 s0, exec_lo, s1
; %bb.21:
	ds_load_b32 v14, v18 offset:4
                                        ; implicit-def: $vgpr17
; %bb.22:
	s_or_saveexec_b32 s0, s0
	v_mov_b32_e32 v15, v12
	s_xor_b32 exec_lo, exec_lo, s0
	s_cbranch_execz .LBB17_24
; %bb.23:
	ds_load_b32 v15, v17 offset:4
	s_wait_dscnt 0x1
	v_mov_b32_e32 v14, v11
.LBB17_24:
	s_or_b32 exec_lo, exec_lo, s0
	v_dual_add_nc_u32 v17, 1, v13 :: v_dual_add_nc_u32 v18, 1, v16
	v_cndmask_b32_e32 v19, v13, v16, vcc_lo
	s_wait_dscnt 0x0
	v_cmp_gt_f32_e64 s0, v15, v14
	v_lshlrev_b16 v10, 8, v10
	v_dual_cndmask_b32 v17, v17, v13 :: v_dual_cndmask_b32 v16, v16, v18
	v_and_b32_e32 v13, 0x60, v6
	s_barrier_signal -1
	s_delay_alu instid0(VALU_DEP_2) | instskip(NEXT) | instid1(VALU_DEP_3)
	v_cmp_ge_i32_e64 s1, v17, v1
	v_cmp_lt_i32_e64 s2, v16, v0
	v_bitop3_b16 v1, v9, v10, 0xff bitop3:0xec
	s_barrier_wait -1
	s_or_b32 s0, s1, s0
	v_add_nc_u32_e32 v0, 32, v13
	s_and_b32 s0, s2, s0
	ds_store_b16 v7, v1
	v_dual_cndmask_b32 v18, v14, v15, s0 :: v_dual_cndmask_b32 v10, v17, v16, s0
	v_or_b32_e32 v1, 16, v13
	s_wait_dscnt 0x0
	s_barrier_signal -1
	s_barrier_wait -1
	ds_load_u8 v9, v19
	ds_load_u8 v10, v10
	v_dual_sub_nc_u32 v15, v0, v1 :: v_dual_bitop2_b32 v14, 30, v6 bitop3:0x40
	v_dual_cndmask_b32 v11, v11, v12 :: v_dual_sub_nc_u32 v16, v1, v13
	s_wait_dscnt 0x0
	s_barrier_signal -1
	s_delay_alu instid0(VALU_DEP_2)
	v_sub_nc_u32_e32 v12, v14, v15
	v_cmp_ge_i32_e32 vcc_lo, v14, v15
	s_barrier_wait -1
	ds_store_2addr_b32 v8, v11, v18 offset1:1
	v_dual_lshlrev_b32 v11, 2, v13 :: v_dual_cndmask_b32 v15, 0, v12, vcc_lo
	v_min_i32_e32 v12, v14, v16
	s_mov_b32 s1, 0
	s_mov_b32 s0, exec_lo
	s_wait_dscnt 0x0
	s_barrier_signal -1
	s_barrier_wait -1
	v_cmpx_lt_i32_e64 v15, v12
	s_cbranch_execz .LBB17_28
; %bb.25:
	v_lshlrev_b32_e32 v16, 2, v14
	s_delay_alu instid0(VALU_DEP_1)
	v_lshl_add_u32 v16, v1, 2, v16
.LBB17_26:                              ; =>This Inner Loop Header: Depth=1
	v_sub_nc_u32_e32 v17, v12, v15
	s_delay_alu instid0(VALU_DEP_1) | instskip(NEXT) | instid1(VALU_DEP_1)
	v_lshrrev_b32_e32 v17, 1, v17
	v_add_nc_u32_e32 v17, v17, v15
	s_delay_alu instid0(VALU_DEP_1) | instskip(SKIP_1) | instid1(VALU_DEP_2)
	v_not_b32_e32 v18, v17
	v_lshl_add_u32 v19, v17, 2, v11
	v_lshl_add_u32 v18, v18, 2, v16
	ds_load_b32 v19, v19
	ds_load_b32 v18, v18
	s_wait_dscnt 0x0
	v_cmp_gt_f32_e32 vcc_lo, v18, v19
	v_dual_add_nc_u32 v20, 1, v17 :: v_dual_cndmask_b32 v12, v12, v17, vcc_lo
	s_delay_alu instid0(VALU_DEP_1) | instskip(NEXT) | instid1(VALU_DEP_1)
	v_cndmask_b32_e32 v15, v20, v15, vcc_lo
	v_cmp_ge_i32_e32 vcc_lo, v15, v12
	s_or_b32 s1, vcc_lo, s1
	s_delay_alu instid0(SALU_CYCLE_1)
	s_and_not1_b32 exec_lo, exec_lo, s1
	s_cbranch_execnz .LBB17_26
; %bb.27:
	s_or_b32 exec_lo, exec_lo, s1
.LBB17_28:
	s_delay_alu instid0(SALU_CYCLE_1) | instskip(SKIP_2) | instid1(VALU_DEP_2)
	s_or_b32 exec_lo, exec_lo, s0
	v_add_nc_u32_e32 v12, v1, v14
	v_lshl_add_u32 v18, v15, 2, v11
                                        ; implicit-def: $vgpr14
	v_dual_add_nc_u32 v13, v15, v13 :: v_dual_sub_nc_u32 v16, v12, v15
	s_delay_alu instid0(VALU_DEP_1) | instskip(NEXT) | instid1(VALU_DEP_2)
	v_cmp_le_i32_e32 vcc_lo, v1, v13
	v_lshlrev_b32_e32 v17, 2, v16
	v_cmp_gt_i32_e64 s1, v0, v16
	ds_load_b32 v11, v18
	ds_load_b32 v12, v17
	s_wait_dscnt 0x0
	v_cmp_gt_f32_e64 s0, v12, v11
	s_or_b32 s0, vcc_lo, s0
	s_delay_alu instid0(SALU_CYCLE_1) | instskip(NEXT) | instid1(SALU_CYCLE_1)
	s_and_b32 vcc_lo, s1, s0
	s_xor_b32 s0, vcc_lo, -1
	s_delay_alu instid0(SALU_CYCLE_1) | instskip(NEXT) | instid1(SALU_CYCLE_1)
	s_and_saveexec_b32 s1, s0
	s_xor_b32 s0, exec_lo, s1
; %bb.29:
	ds_load_b32 v14, v18 offset:4
                                        ; implicit-def: $vgpr17
; %bb.30:
	s_or_saveexec_b32 s0, s0
	v_mov_b32_e32 v15, v12
	s_xor_b32 exec_lo, exec_lo, s0
	s_cbranch_execz .LBB17_32
; %bb.31:
	ds_load_b32 v15, v17 offset:4
	s_wait_dscnt 0x1
	v_mov_b32_e32 v14, v11
.LBB17_32:
	s_or_b32 exec_lo, exec_lo, s0
	v_dual_add_nc_u32 v17, 1, v13 :: v_dual_add_nc_u32 v18, 1, v16
	v_cndmask_b32_e32 v19, v13, v16, vcc_lo
	s_wait_dscnt 0x0
	v_cmp_gt_f32_e64 s0, v15, v14
	v_lshlrev_b16 v10, 8, v10
	v_dual_cndmask_b32 v17, v17, v13, vcc_lo :: v_dual_bitop2_b32 v13, 64, v6 bitop3:0x40
	v_cndmask_b32_e32 v16, v16, v18, vcc_lo
	s_barrier_signal -1
	s_delay_alu instid0(VALU_DEP_2) | instskip(SKIP_1) | instid1(VALU_DEP_3)
	v_cmp_ge_i32_e64 s1, v17, v1
	v_bitop3_b16 v1, v9, v10, 0xff bitop3:0xec
	v_cmp_lt_i32_e64 s2, v16, v0
	s_barrier_wait -1
	s_or_b32 s0, s1, s0
	ds_store_b16 v7, v1
	s_and_b32 s0, s2, s0
	s_wait_dscnt 0x0
	v_dual_cndmask_b32 v18, v14, v15, s0 :: v_dual_cndmask_b32 v10, v17, v16, s0
	v_dual_add_nc_u32 v0, 64, v13 :: v_dual_bitop2_b32 v1, 32, v13 bitop3:0x54
	s_barrier_signal -1
	s_barrier_wait -1
	ds_load_u8 v9, v19
	ds_load_u8 v10, v10
	v_dual_sub_nc_u32 v15, v0, v1 :: v_dual_bitop2_b32 v14, 62, v6 bitop3:0x40
	v_cndmask_b32_e32 v11, v11, v12, vcc_lo
	s_wait_dscnt 0x0
	s_barrier_signal -1
	s_barrier_wait -1
	v_sub_nc_u32_e32 v12, v14, v15
	v_cmp_ge_i32_e32 vcc_lo, v14, v15
	v_sub_nc_u32_e32 v16, v1, v13
	ds_store_2addr_b32 v8, v11, v18 offset1:1
	v_dual_lshlrev_b32 v11, 2, v13 :: v_dual_cndmask_b32 v15, 0, v12, vcc_lo
	v_min_i32_e32 v12, v14, v16
	s_mov_b32 s1, 0
	s_mov_b32 s0, exec_lo
	s_wait_dscnt 0x0
	s_barrier_signal -1
	s_barrier_wait -1
	v_cmpx_lt_i32_e64 v15, v12
	s_cbranch_execz .LBB17_36
; %bb.33:
	v_lshlrev_b32_e32 v16, 2, v14
	s_delay_alu instid0(VALU_DEP_1)
	v_lshl_add_u32 v16, v1, 2, v16
.LBB17_34:                              ; =>This Inner Loop Header: Depth=1
	v_sub_nc_u32_e32 v17, v12, v15
	s_delay_alu instid0(VALU_DEP_1) | instskip(NEXT) | instid1(VALU_DEP_1)
	v_lshrrev_b32_e32 v17, 1, v17
	v_add_nc_u32_e32 v17, v17, v15
	s_delay_alu instid0(VALU_DEP_1) | instskip(SKIP_1) | instid1(VALU_DEP_2)
	v_not_b32_e32 v18, v17
	v_lshl_add_u32 v19, v17, 2, v11
	v_lshl_add_u32 v18, v18, 2, v16
	ds_load_b32 v19, v19
	ds_load_b32 v18, v18
	s_wait_dscnt 0x0
	v_cmp_gt_f32_e32 vcc_lo, v18, v19
	v_dual_add_nc_u32 v20, 1, v17 :: v_dual_cndmask_b32 v12, v12, v17, vcc_lo
	s_delay_alu instid0(VALU_DEP_1) | instskip(NEXT) | instid1(VALU_DEP_1)
	v_cndmask_b32_e32 v15, v20, v15, vcc_lo
	v_cmp_ge_i32_e32 vcc_lo, v15, v12
	s_or_b32 s1, vcc_lo, s1
	s_delay_alu instid0(SALU_CYCLE_1)
	s_and_not1_b32 exec_lo, exec_lo, s1
	s_cbranch_execnz .LBB17_34
; %bb.35:
	s_or_b32 exec_lo, exec_lo, s1
.LBB17_36:
	s_delay_alu instid0(SALU_CYCLE_1) | instskip(SKIP_2) | instid1(VALU_DEP_2)
	s_or_b32 exec_lo, exec_lo, s0
	v_add_nc_u32_e32 v12, v1, v14
	v_lshl_add_u32 v16, v15, 2, v11
	v_dual_sub_nc_u32 v14, v12, v15 :: v_dual_add_nc_u32 v15, v15, v13
                                        ; implicit-def: $vgpr13
	s_delay_alu instid0(VALU_DEP_1) | instskip(NEXT) | instid1(VALU_DEP_2)
	v_lshlrev_b32_e32 v17, 2, v14
	v_cmp_le_i32_e32 vcc_lo, v1, v15
	v_cmp_gt_i32_e64 s1, v0, v14
	ds_load_b32 v11, v16
	ds_load_b32 v12, v17
	s_wait_dscnt 0x0
	v_cmp_gt_f32_e64 s0, v12, v11
	s_or_b32 s0, vcc_lo, s0
	s_delay_alu instid0(SALU_CYCLE_1) | instskip(NEXT) | instid1(SALU_CYCLE_1)
	s_and_b32 vcc_lo, s1, s0
	s_xor_b32 s0, vcc_lo, -1
	s_delay_alu instid0(SALU_CYCLE_1) | instskip(NEXT) | instid1(SALU_CYCLE_1)
	s_and_saveexec_b32 s1, s0
	s_xor_b32 s0, exec_lo, s1
; %bb.37:
	ds_load_b32 v13, v16 offset:4
                                        ; implicit-def: $vgpr17
; %bb.38:
	s_or_saveexec_b32 s0, s0
	v_mov_b32_e32 v16, v12
	s_xor_b32 exec_lo, exec_lo, s0
	s_cbranch_execz .LBB17_40
; %bb.39:
	ds_load_b32 v16, v17 offset:4
	s_wait_dscnt 0x1
	v_mov_b32_e32 v13, v11
.LBB17_40:
	s_or_b32 exec_lo, exec_lo, s0
	v_dual_add_nc_u32 v17, 1, v15 :: v_dual_add_nc_u32 v18, 1, v14
	v_cndmask_b32_e32 v19, v15, v14, vcc_lo
	s_wait_dscnt 0x0
	v_cmp_gt_f32_e64 s0, v16, v13
	v_lshlrev_b16 v10, 8, v10
	v_dual_cndmask_b32 v15, v17, v15 :: v_dual_cndmask_b32 v14, v14, v18
	s_barrier_signal -1
	s_barrier_wait -1
	s_delay_alu instid0(VALU_DEP_1) | instskip(NEXT) | instid1(VALU_DEP_2)
	v_cmp_ge_i32_e64 s1, v15, v1
	v_cmp_lt_i32_e64 s2, v14, v0
	v_bitop3_b16 v1, v9, v10, 0xff bitop3:0xec
	v_cndmask_b32_e32 v11, v11, v12, vcc_lo
	s_or_b32 s0, s1, s0
	ds_store_b16 v7, v1
	s_and_b32 s0, s2, s0
	s_wait_dscnt 0x0
	v_dual_cndmask_b32 v13, v13, v16, s0 :: v_dual_cndmask_b32 v0, v15, v14, s0
	s_barrier_signal -1
	s_barrier_wait -1
	ds_load_u8 v1, v19
	ds_load_u8 v9, v0
	v_and_b32_e32 v0, 0x7e, v6
	s_mov_b32 s0, exec_lo
	s_wait_dscnt 0x0
	s_barrier_signal -1
	s_barrier_wait -1
	v_sub_nc_u32_e64 v6, v0, 64 clamp
	v_min_i32_e32 v10, 64, v0
	ds_store_2addr_b32 v8, v11, v13 offset1:1
	s_wait_dscnt 0x0
	s_barrier_signal -1
	s_barrier_wait -1
	v_cmpx_lt_i32_e64 v6, v10
	s_cbranch_execz .LBB17_44
; %bb.41:
	v_lshlrev_b32_e32 v8, 2, v0
	s_mov_b32 s1, 0
	s_delay_alu instid0(VALU_DEP_1)
	v_lshl_add_u32 v8, 64, 2, v8
.LBB17_42:                              ; =>This Inner Loop Header: Depth=1
	v_sub_nc_u32_e32 v11, v10, v6
	s_delay_alu instid0(VALU_DEP_1) | instskip(NEXT) | instid1(VALU_DEP_1)
	v_lshrrev_b32_e32 v11, 1, v11
	v_add_nc_u32_e32 v11, v11, v6
	s_delay_alu instid0(VALU_DEP_1) | instskip(SKIP_1) | instid1(VALU_DEP_2)
	v_not_b32_e32 v12, v11
	v_dual_lshlrev_b32 v13, 2, v11 :: v_dual_add_nc_u32 v14, 1, v11
	v_lshl_add_u32 v12, v12, 2, v8
	ds_load_b32 v13, v13
	ds_load_b32 v12, v12
	s_wait_dscnt 0x0
	v_cmp_gt_f32_e32 vcc_lo, v12, v13
	v_cndmask_b32_e32 v10, v10, v11, vcc_lo
	v_cndmask_b32_e32 v6, v14, v6, vcc_lo
	s_delay_alu instid0(VALU_DEP_1) | instskip(SKIP_1) | instid1(SALU_CYCLE_1)
	v_cmp_ge_i32_e32 vcc_lo, v6, v10
	s_or_b32 s1, vcc_lo, s1
	s_and_not1_b32 exec_lo, exec_lo, s1
	s_cbranch_execnz .LBB17_42
; %bb.43:
	s_or_b32 exec_lo, exec_lo, s1
.LBB17_44:
	s_delay_alu instid0(SALU_CYCLE_1) | instskip(SKIP_2) | instid1(VALU_DEP_2)
	s_or_b32 exec_lo, exec_lo, s0
	v_add_nc_u32_e32 v0, 64, v0
	v_cmp_gt_i32_e32 vcc_lo, 64, v6
                                        ; implicit-def: $vgpr12
                                        ; implicit-def: $vgpr11
	v_dual_sub_nc_u32 v8, v0, v6 :: v_dual_lshlrev_b32 v0, 2, v6
	s_delay_alu instid0(VALU_DEP_1)
	v_lshlrev_b32_e32 v15, 2, v8
	v_cmp_lt_i32_e64 s1, 0x7f, v8
	ds_load_b32 v14, v0
	ds_load_b32 v10, v15
	s_wait_dscnt 0x0
	v_cmp_ngt_f32_e64 s0, v10, v14
	s_and_b32 s0, vcc_lo, s0
	s_delay_alu instid0(SALU_CYCLE_1) | instskip(NEXT) | instid1(SALU_CYCLE_1)
	s_or_b32 s0, s1, s0
	s_and_saveexec_b32 s1, s0
	s_delay_alu instid0(SALU_CYCLE_1)
	s_xor_b32 s0, exec_lo, s1
; %bb.45:
	ds_load_b32 v12, v0 offset:4
	v_add_nc_u32_e32 v11, 1, v6
                                        ; implicit-def: $vgpr15
; %bb.46:
	s_or_saveexec_b32 s0, s0
	v_dual_mov_b32 v0, v14 :: v_dual_mov_b32 v13, v6
	s_xor_b32 exec_lo, exec_lo, s0
	s_cbranch_execz .LBB17_48
; %bb.47:
	ds_load_b32 v15, v15 offset:4
	s_wait_dscnt 0x1
	v_dual_add_nc_u32 v12, 1, v8 :: v_dual_mov_b32 v0, v10
	v_dual_mov_b32 v13, v8 :: v_dual_mov_b32 v11, v6
	s_delay_alu instid0(VALU_DEP_2)
	v_dual_mov_b32 v8, v12 :: v_dual_mov_b32 v12, v14
	s_wait_dscnt 0x0
	v_mov_b32_e32 v10, v15
.LBB17_48:
	s_or_b32 exec_lo, exec_lo, s0
	v_cmp_le_i32_e32 vcc_lo, 64, v11
	s_wait_dscnt 0x0
	s_delay_alu instid0(VALU_DEP_2)
	v_cmp_gt_f32_e64 s0, v10, v12
	v_cmp_gt_i32_e64 s1, 0x80, v8
	v_lshlrev_b16 v6, 8, v9
	s_barrier_signal -1
	s_or_b32 s0, vcc_lo, s0
	s_barrier_wait -1
	s_and_b32 vcc_lo, s1, s0
	v_bitop3_b16 v6, v1, v6, 0xff bitop3:0xec
	v_dual_cndmask_b32 v1, v12, v10 :: v_dual_cndmask_b32 v8, v11, v8
	ds_store_b16 v7, v6
	s_wait_dscnt 0x0
	s_barrier_signal -1
	s_barrier_wait -1
	ds_load_u8 v6, v8
	ds_load_u8 v7, v13
	s_wait_dscnt 0x1
	v_lshlrev_b16 v6, 8, v6
	s_wait_dscnt 0x0
	s_delay_alu instid0(VALU_DEP_1)
	v_or_b32_e32 v6, v7, v6
	global_store_b64 v[2:3], v[0:1], off
	global_store_b16 v[4:5], v6, off
	s_endpgm
	.section	.rodata,"a",@progbits
	.p2align	6, 0x0
	.amdhsa_kernel _Z21sort_key_value_kernelILj64ELj2EfcN10test_utils7greaterEEvPT1_PT2_T3_
		.amdhsa_group_segment_fixed_size 516
		.amdhsa_private_segment_fixed_size 0
		.amdhsa_kernarg_size 20
		.amdhsa_user_sgpr_count 2
		.amdhsa_user_sgpr_dispatch_ptr 0
		.amdhsa_user_sgpr_queue_ptr 0
		.amdhsa_user_sgpr_kernarg_segment_ptr 1
		.amdhsa_user_sgpr_dispatch_id 0
		.amdhsa_user_sgpr_kernarg_preload_length 0
		.amdhsa_user_sgpr_kernarg_preload_offset 0
		.amdhsa_user_sgpr_private_segment_size 0
		.amdhsa_wavefront_size32 1
		.amdhsa_uses_dynamic_stack 0
		.amdhsa_enable_private_segment 0
		.amdhsa_system_sgpr_workgroup_id_x 1
		.amdhsa_system_sgpr_workgroup_id_y 0
		.amdhsa_system_sgpr_workgroup_id_z 0
		.amdhsa_system_sgpr_workgroup_info 0
		.amdhsa_system_vgpr_workitem_id 0
		.amdhsa_next_free_vgpr 21
		.amdhsa_next_free_sgpr 8
		.amdhsa_named_barrier_count 0
		.amdhsa_reserve_vcc 1
		.amdhsa_float_round_mode_32 0
		.amdhsa_float_round_mode_16_64 0
		.amdhsa_float_denorm_mode_32 3
		.amdhsa_float_denorm_mode_16_64 3
		.amdhsa_fp16_overflow 0
		.amdhsa_memory_ordered 1
		.amdhsa_forward_progress 1
		.amdhsa_inst_pref_size 27
		.amdhsa_round_robin_scheduling 0
		.amdhsa_exception_fp_ieee_invalid_op 0
		.amdhsa_exception_fp_denorm_src 0
		.amdhsa_exception_fp_ieee_div_zero 0
		.amdhsa_exception_fp_ieee_overflow 0
		.amdhsa_exception_fp_ieee_underflow 0
		.amdhsa_exception_fp_ieee_inexact 0
		.amdhsa_exception_int_div_zero 0
	.end_amdhsa_kernel
	.section	.text._Z21sort_key_value_kernelILj64ELj2EfcN10test_utils7greaterEEvPT1_PT2_T3_,"axG",@progbits,_Z21sort_key_value_kernelILj64ELj2EfcN10test_utils7greaterEEvPT1_PT2_T3_,comdat
.Lfunc_end17:
	.size	_Z21sort_key_value_kernelILj64ELj2EfcN10test_utils7greaterEEvPT1_PT2_T3_, .Lfunc_end17-_Z21sort_key_value_kernelILj64ELj2EfcN10test_utils7greaterEEvPT1_PT2_T3_
                                        ; -- End function
	.set _Z21sort_key_value_kernelILj64ELj2EfcN10test_utils7greaterEEvPT1_PT2_T3_.num_vgpr, 21
	.set _Z21sort_key_value_kernelILj64ELj2EfcN10test_utils7greaterEEvPT1_PT2_T3_.num_agpr, 0
	.set _Z21sort_key_value_kernelILj64ELj2EfcN10test_utils7greaterEEvPT1_PT2_T3_.numbered_sgpr, 8
	.set _Z21sort_key_value_kernelILj64ELj2EfcN10test_utils7greaterEEvPT1_PT2_T3_.num_named_barrier, 0
	.set _Z21sort_key_value_kernelILj64ELj2EfcN10test_utils7greaterEEvPT1_PT2_T3_.private_seg_size, 0
	.set _Z21sort_key_value_kernelILj64ELj2EfcN10test_utils7greaterEEvPT1_PT2_T3_.uses_vcc, 1
	.set _Z21sort_key_value_kernelILj64ELj2EfcN10test_utils7greaterEEvPT1_PT2_T3_.uses_flat_scratch, 0
	.set _Z21sort_key_value_kernelILj64ELj2EfcN10test_utils7greaterEEvPT1_PT2_T3_.has_dyn_sized_stack, 0
	.set _Z21sort_key_value_kernelILj64ELj2EfcN10test_utils7greaterEEvPT1_PT2_T3_.has_recursion, 0
	.set _Z21sort_key_value_kernelILj64ELj2EfcN10test_utils7greaterEEvPT1_PT2_T3_.has_indirect_call, 0
	.section	.AMDGPU.csdata,"",@progbits
; Kernel info:
; codeLenInByte = 3420
; TotalNumSgprs: 10
; NumVgprs: 21
; ScratchSize: 0
; MemoryBound: 0
; FloatMode: 240
; IeeeMode: 1
; LDSByteSize: 516 bytes/workgroup (compile time only)
; SGPRBlocks: 0
; VGPRBlocks: 1
; NumSGPRsForWavesPerEU: 10
; NumVGPRsForWavesPerEU: 21
; NamedBarCnt: 0
; Occupancy: 16
; WaveLimiterHint : 0
; COMPUTE_PGM_RSRC2:SCRATCH_EN: 0
; COMPUTE_PGM_RSRC2:USER_SGPR: 2
; COMPUTE_PGM_RSRC2:TRAP_HANDLER: 0
; COMPUTE_PGM_RSRC2:TGID_X_EN: 1
; COMPUTE_PGM_RSRC2:TGID_Y_EN: 0
; COMPUTE_PGM_RSRC2:TGID_Z_EN: 0
; COMPUTE_PGM_RSRC2:TIDIG_COMP_CNT: 0
	.section	.text._Z21sort_key_value_kernelILj1024ELj1EtcN10test_utils7greaterEEvPT1_PT2_T3_,"axG",@progbits,_Z21sort_key_value_kernelILj1024ELj1EtcN10test_utils7greaterEEvPT1_PT2_T3_,comdat
	.protected	_Z21sort_key_value_kernelILj1024ELj1EtcN10test_utils7greaterEEvPT1_PT2_T3_ ; -- Begin function _Z21sort_key_value_kernelILj1024ELj1EtcN10test_utils7greaterEEvPT1_PT2_T3_
	.globl	_Z21sort_key_value_kernelILj1024ELj1EtcN10test_utils7greaterEEvPT1_PT2_T3_
	.p2align	8
	.type	_Z21sort_key_value_kernelILj1024ELj1EtcN10test_utils7greaterEEvPT1_PT2_T3_,@function
_Z21sort_key_value_kernelILj1024ELj1EtcN10test_utils7greaterEEvPT1_PT2_T3_: ; @_Z21sort_key_value_kernelILj1024ELj1EtcN10test_utils7greaterEEvPT1_PT2_T3_
; %bb.0:
	s_load_b128 s[4:7], s[0:1], 0x0
	s_wait_xcnt 0x0
	s_bfe_u32 s0, ttmp6, 0x4000c
	s_and_b32 s1, ttmp6, 15
	s_add_co_i32 s0, s0, 1
	s_getreg_b32 s2, hwreg(HW_REG_IB_STS2, 6, 4)
	s_mul_i32 s0, ttmp9, s0
	s_mov_b32 s3, 0
	s_add_co_i32 s1, s1, s0
	s_cmp_eq_u32 s2, 0
	v_and_b32_e32 v10, 0x3fe, v0
	s_cselect_b32 s0, ttmp9, s1
	v_dual_mov_b32 v1, 0 :: v_dual_bitop2_b32 v9, 1, v0 bitop3:0x54
	s_lshl_b32 s2, s0, 10
	v_and_b32_e32 v4, 1, v0
	s_lshl_b64 s[0:1], s[2:3], 1
	s_delay_alu instid0(VALU_DEP_2)
	v_sub_nc_u32_e32 v2, v9, v10
	v_dual_mov_b32 v3, v1 :: v_dual_mov_b32 v12, v1
	v_lshlrev_b32_e32 v11, 1, v10
	s_wait_kmcnt 0x0
	s_add_nc_u64 s[0:1], s[4:5], s[0:1]
	s_add_nc_u64 s[4:5], s[6:7], s[2:3]
	s_clause 0x1
	global_load_u16 v5, v0, s[0:1] scale_offset
	global_load_u8 v8, v0, s[4:5]
	v_dual_lshlrev_b32 v2, 1, v0 :: v_dual_min_i32 v6, v4, v2
	s_mov_b32 s2, exec_lo
	s_wait_loadcnt 0x0
	s_barrier_signal -1
	s_barrier_wait -1
	ds_store_b16 v2, v5
	s_wait_dscnt 0x0
	s_barrier_signal -1
	s_barrier_wait -1
	s_wait_xcnt 0x0
	v_cmpx_lt_i32_e32 0, v6
	s_cbranch_execz .LBB18_4
; %bb.1:
	v_dual_mov_b32 v4, 1 :: v_dual_lshlrev_b32 v5, 1, v4
	v_mov_b32_e32 v12, v1
	s_delay_alu instid0(VALU_DEP_2)
	v_lshl_add_u32 v5, v9, 1, v5
.LBB18_2:                               ; =>This Inner Loop Header: Depth=1
	s_delay_alu instid0(VALU_DEP_2) | instskip(NEXT) | instid1(VALU_DEP_1)
	v_sub_nc_u32_e32 v6, v4, v12
	v_lshrrev_b32_e32 v6, 1, v6
	s_delay_alu instid0(VALU_DEP_1) | instskip(NEXT) | instid1(VALU_DEP_1)
	v_add_nc_u32_e32 v6, v6, v12
	v_not_b32_e32 v7, v6
	v_lshl_add_u32 v13, v6, 1, v11
	s_delay_alu instid0(VALU_DEP_2)
	v_lshl_add_u32 v7, v7, 1, v5
	ds_load_u16 v13, v13
	ds_load_u16 v7, v7
	s_wait_dscnt 0x0
	v_cmp_gt_u16_e32 vcc_lo, v7, v13
	v_dual_add_nc_u32 v14, 1, v6 :: v_dual_cndmask_b32 v4, v4, v6, vcc_lo
	s_delay_alu instid0(VALU_DEP_1) | instskip(NEXT) | instid1(VALU_DEP_1)
	v_cndmask_b32_e32 v12, v14, v12, vcc_lo
	v_cmp_ge_i32_e32 vcc_lo, v12, v4
	s_or_b32 s3, vcc_lo, s3
	s_delay_alu instid0(SALU_CYCLE_1)
	s_and_not1_b32 exec_lo, exec_lo, s3
	s_cbranch_execnz .LBB18_2
; %bb.3:
	s_or_b32 exec_lo, exec_lo, s3
.LBB18_4:
	s_delay_alu instid0(SALU_CYCLE_1) | instskip(SKIP_4) | instid1(VALU_DEP_3)
	s_or_b32 exec_lo, exec_lo, s2
	v_add_nc_u64_e32 v[6:7], s[4:5], v[0:1]
	v_sub_nc_u32_e32 v1, v0, v12
	v_add_nc_u64_e32 v[4:5], s[0:1], v[2:3]
	v_lshl_add_u32 v3, v12, 1, v11
	v_dual_add_nc_u32 v10, v12, v10 :: v_dual_lshlrev_b32 v11, 1, v1
	ds_load_u16 v13, v3
	ds_load_u16 v11, v11 offset:2
	v_and_b32_e32 v3, 0x3fc, v0
	v_add_nc_u32_e32 v1, 1, v1
	v_cmp_le_i32_e32 vcc_lo, v9, v10
	s_wait_dscnt 0x0
	s_barrier_signal -1
	s_barrier_wait -1
	ds_store_b8 v0, v8
	v_or_b32_e32 v8, 2, v3
	v_cmp_ge_i32_e64 s0, v9, v1
	s_wait_dscnt 0x0
	s_barrier_signal -1
	s_barrier_wait -1
	v_dual_sub_nc_u32 v12, v8, v3 :: v_dual_bitop2_b32 v9, 3, v0 bitop3:0x40
	v_cmp_gt_u16_e64 s1, v11, v13
	s_or_b32 s1, vcc_lo, s1
	s_delay_alu instid0(SALU_CYCLE_1)
	s_and_b32 vcc_lo, s0, s1
	s_mov_b32 s0, exec_lo
	v_dual_cndmask_b32 v1, v10, v1, vcc_lo :: v_dual_cndmask_b32 v11, v13, v11, vcc_lo
	v_sub_nc_u32_e64 v10, v9, 2 clamp
	ds_load_u8 v1, v1
	s_wait_dscnt 0x0
	s_barrier_signal -1
	s_barrier_wait -1
	ds_store_b16 v2, v11
	v_dual_lshlrev_b32 v11, 1, v3 :: v_dual_min_i32 v12, v9, v12
	s_wait_dscnt 0x0
	s_barrier_signal -1
	s_barrier_wait -1
	s_delay_alu instid0(VALU_DEP_1)
	v_cmpx_lt_i32_e64 v10, v12
	s_cbranch_execz .LBB18_8
; %bb.5:
	v_lshl_add_u32 v13, v9, 1, v11
	s_mov_b32 s1, 0
.LBB18_6:                               ; =>This Inner Loop Header: Depth=1
	v_sub_nc_u32_e32 v14, v12, v10
	s_delay_alu instid0(VALU_DEP_1) | instskip(NEXT) | instid1(VALU_DEP_1)
	v_lshrrev_b32_e32 v14, 1, v14
	v_add_nc_u32_e32 v14, v14, v10
	s_delay_alu instid0(VALU_DEP_1) | instskip(SKIP_1) | instid1(VALU_DEP_2)
	v_not_b32_e32 v15, v14
	v_lshl_add_u32 v16, v14, 1, v11
	v_lshl_add_u32 v15, v15, 1, v13
	ds_load_u16 v16, v16
	ds_load_u16 v15, v15 offset:4
	s_wait_dscnt 0x0
	v_cmp_gt_u16_e32 vcc_lo, v15, v16
	v_dual_cndmask_b32 v12, v12, v14 :: v_dual_add_nc_u32 v17, 1, v14
	s_delay_alu instid0(VALU_DEP_1) | instskip(NEXT) | instid1(VALU_DEP_1)
	v_cndmask_b32_e32 v10, v17, v10, vcc_lo
	v_cmp_ge_i32_e32 vcc_lo, v10, v12
	s_or_b32 s1, vcc_lo, s1
	s_delay_alu instid0(SALU_CYCLE_1)
	s_and_not1_b32 exec_lo, exec_lo, s1
	s_cbranch_execnz .LBB18_6
; %bb.7:
	s_or_b32 exec_lo, exec_lo, s1
.LBB18_8:
	s_delay_alu instid0(SALU_CYCLE_1) | instskip(SKIP_3) | instid1(VALU_DEP_3)
	s_or_b32 exec_lo, exec_lo, s0
	v_dual_add_nc_u32 v12, v3, v9 :: v_dual_add_nc_u32 v8, v8, v9
	v_lshl_add_u32 v11, v10, 1, v11
	v_cmp_lt_i32_e32 vcc_lo, 1, v10
	v_dual_add_nc_u32 v9, 4, v3 :: v_dual_sub_nc_u32 v12, v12, v10
	s_delay_alu instid0(VALU_DEP_1)
	v_dual_sub_nc_u32 v8, v8, v10 :: v_dual_lshlrev_b32 v12, 1, v12
	ds_load_u16 v11, v11
	ds_load_u16 v12, v12 offset:4
	v_cmp_gt_i32_e64 s0, v9, v8
	s_wait_dscnt 0x0
	s_barrier_signal -1
	s_barrier_wait -1
	ds_store_b8 v0, v1
	s_wait_dscnt 0x0
	s_barrier_signal -1
	s_barrier_wait -1
	v_cmp_gt_u16_e64 s1, v12, v11
	s_or_b32 s1, vcc_lo, s1
	s_delay_alu instid0(SALU_CYCLE_1) | instskip(NEXT) | instid1(SALU_CYCLE_1)
	s_and_b32 vcc_lo, s0, s1
	v_dual_add_nc_u32 v13, v10, v3 :: v_dual_cndmask_b32 v11, v11, v12, vcc_lo
	v_and_b32_e32 v3, 0x3f8, v0
	s_mov_b32 s0, exec_lo
	s_delay_alu instid0(VALU_DEP_1)
	v_dual_cndmask_b32 v1, v13, v8, vcc_lo :: v_dual_bitop2_b32 v8, 4, v3 bitop3:0x54
	v_and_b32_e32 v9, 7, v0
	ds_load_u8 v1, v1
	s_wait_dscnt 0x0
	v_sub_nc_u32_e32 v12, v8, v3
	s_barrier_signal -1
	v_sub_nc_u32_e64 v10, v9, 4 clamp
	s_barrier_wait -1
	s_delay_alu instid0(VALU_DEP_2)
	v_min_i32_e32 v12, v9, v12
	ds_store_b16 v2, v11
	v_lshlrev_b32_e32 v11, 1, v3
	s_wait_dscnt 0x0
	s_barrier_signal -1
	s_barrier_wait -1
	v_cmpx_lt_i32_e64 v10, v12
	s_cbranch_execz .LBB18_12
; %bb.9:
	v_lshl_add_u32 v13, v9, 1, v11
	s_mov_b32 s1, 0
.LBB18_10:                              ; =>This Inner Loop Header: Depth=1
	v_sub_nc_u32_e32 v14, v12, v10
	s_delay_alu instid0(VALU_DEP_1) | instskip(NEXT) | instid1(VALU_DEP_1)
	v_lshrrev_b32_e32 v14, 1, v14
	v_add_nc_u32_e32 v14, v14, v10
	s_delay_alu instid0(VALU_DEP_1) | instskip(SKIP_1) | instid1(VALU_DEP_2)
	v_not_b32_e32 v15, v14
	v_lshl_add_u32 v16, v14, 1, v11
	v_lshl_add_u32 v15, v15, 1, v13
	ds_load_u16 v16, v16
	ds_load_u16 v15, v15 offset:8
	s_wait_dscnt 0x0
	v_cmp_gt_u16_e32 vcc_lo, v15, v16
	v_dual_cndmask_b32 v12, v12, v14 :: v_dual_add_nc_u32 v17, 1, v14
	s_delay_alu instid0(VALU_DEP_1) | instskip(NEXT) | instid1(VALU_DEP_1)
	v_cndmask_b32_e32 v10, v17, v10, vcc_lo
	v_cmp_ge_i32_e32 vcc_lo, v10, v12
	s_or_b32 s1, vcc_lo, s1
	s_delay_alu instid0(SALU_CYCLE_1)
	s_and_not1_b32 exec_lo, exec_lo, s1
	s_cbranch_execnz .LBB18_10
; %bb.11:
	s_or_b32 exec_lo, exec_lo, s1
.LBB18_12:
	s_delay_alu instid0(SALU_CYCLE_1) | instskip(SKIP_3) | instid1(VALU_DEP_3)
	s_or_b32 exec_lo, exec_lo, s0
	v_dual_add_nc_u32 v12, v3, v9 :: v_dual_add_nc_u32 v8, v8, v9
	v_lshl_add_u32 v11, v10, 1, v11
	v_cmp_lt_i32_e32 vcc_lo, 3, v10
	v_dual_add_nc_u32 v9, 8, v3 :: v_dual_sub_nc_u32 v12, v12, v10
	s_delay_alu instid0(VALU_DEP_1)
	v_dual_sub_nc_u32 v8, v8, v10 :: v_dual_lshlrev_b32 v12, 1, v12
	ds_load_u16 v11, v11
	ds_load_u16 v12, v12 offset:8
	v_cmp_gt_i32_e64 s0, v9, v8
	s_wait_dscnt 0x0
	s_barrier_signal -1
	s_barrier_wait -1
	ds_store_b8 v0, v1
	s_wait_dscnt 0x0
	s_barrier_signal -1
	s_barrier_wait -1
	v_cmp_gt_u16_e64 s1, v12, v11
	s_or_b32 s1, vcc_lo, s1
	s_delay_alu instid0(SALU_CYCLE_1) | instskip(NEXT) | instid1(SALU_CYCLE_1)
	s_and_b32 vcc_lo, s0, s1
	v_dual_add_nc_u32 v13, v10, v3 :: v_dual_cndmask_b32 v11, v11, v12, vcc_lo
	v_and_b32_e32 v3, 0x3f0, v0
	s_mov_b32 s0, exec_lo
	s_delay_alu instid0(VALU_DEP_1)
	v_dual_cndmask_b32 v1, v13, v8, vcc_lo :: v_dual_bitop2_b32 v8, 8, v3 bitop3:0x54
	v_and_b32_e32 v9, 15, v0
	ds_load_u8 v1, v1
	s_wait_dscnt 0x0
	v_sub_nc_u32_e32 v12, v8, v3
	s_barrier_signal -1
	v_sub_nc_u32_e64 v10, v9, 8 clamp
	s_barrier_wait -1
	s_delay_alu instid0(VALU_DEP_2)
	v_min_i32_e32 v12, v9, v12
	ds_store_b16 v2, v11
	v_lshlrev_b32_e32 v11, 1, v3
	s_wait_dscnt 0x0
	s_barrier_signal -1
	s_barrier_wait -1
	v_cmpx_lt_i32_e64 v10, v12
	s_cbranch_execz .LBB18_16
; %bb.13:
	v_lshl_add_u32 v13, v9, 1, v11
	s_mov_b32 s1, 0
.LBB18_14:                              ; =>This Inner Loop Header: Depth=1
	v_sub_nc_u32_e32 v14, v12, v10
	s_delay_alu instid0(VALU_DEP_1) | instskip(NEXT) | instid1(VALU_DEP_1)
	v_lshrrev_b32_e32 v14, 1, v14
	v_add_nc_u32_e32 v14, v14, v10
	s_delay_alu instid0(VALU_DEP_1) | instskip(SKIP_1) | instid1(VALU_DEP_2)
	v_not_b32_e32 v15, v14
	v_lshl_add_u32 v16, v14, 1, v11
	v_lshl_add_u32 v15, v15, 1, v13
	ds_load_u16 v16, v16
	ds_load_u16 v15, v15 offset:16
	s_wait_dscnt 0x0
	v_cmp_gt_u16_e32 vcc_lo, v15, v16
	v_dual_cndmask_b32 v12, v12, v14 :: v_dual_add_nc_u32 v17, 1, v14
	s_delay_alu instid0(VALU_DEP_1) | instskip(NEXT) | instid1(VALU_DEP_1)
	v_cndmask_b32_e32 v10, v17, v10, vcc_lo
	v_cmp_ge_i32_e32 vcc_lo, v10, v12
	s_or_b32 s1, vcc_lo, s1
	s_delay_alu instid0(SALU_CYCLE_1)
	s_and_not1_b32 exec_lo, exec_lo, s1
	s_cbranch_execnz .LBB18_14
; %bb.15:
	s_or_b32 exec_lo, exec_lo, s1
.LBB18_16:
	s_delay_alu instid0(SALU_CYCLE_1) | instskip(SKIP_3) | instid1(VALU_DEP_3)
	s_or_b32 exec_lo, exec_lo, s0
	v_dual_add_nc_u32 v12, v3, v9 :: v_dual_add_nc_u32 v8, v8, v9
	v_lshl_add_u32 v11, v10, 1, v11
	v_cmp_lt_i32_e32 vcc_lo, 7, v10
	v_dual_add_nc_u32 v9, 16, v3 :: v_dual_sub_nc_u32 v12, v12, v10
	s_delay_alu instid0(VALU_DEP_1)
	v_dual_sub_nc_u32 v8, v8, v10 :: v_dual_lshlrev_b32 v12, 1, v12
	ds_load_u16 v11, v11
	ds_load_u16 v12, v12 offset:16
	v_cmp_gt_i32_e64 s0, v9, v8
	s_wait_dscnt 0x0
	s_barrier_signal -1
	s_barrier_wait -1
	ds_store_b8 v0, v1
	s_wait_dscnt 0x0
	s_barrier_signal -1
	s_barrier_wait -1
	v_cmp_gt_u16_e64 s1, v12, v11
	s_or_b32 s1, vcc_lo, s1
	s_delay_alu instid0(SALU_CYCLE_1) | instskip(NEXT) | instid1(SALU_CYCLE_1)
	s_and_b32 vcc_lo, s0, s1
	v_dual_add_nc_u32 v13, v10, v3 :: v_dual_cndmask_b32 v11, v11, v12, vcc_lo
	v_and_b32_e32 v3, 0x3e0, v0
	s_mov_b32 s0, exec_lo
	s_delay_alu instid0(VALU_DEP_1)
	v_dual_cndmask_b32 v1, v13, v8, vcc_lo :: v_dual_bitop2_b32 v8, 16, v3 bitop3:0x54
	v_and_b32_e32 v9, 31, v0
	ds_load_u8 v1, v1
	s_wait_dscnt 0x0
	v_sub_nc_u32_e32 v12, v8, v3
	s_barrier_signal -1
	v_sub_nc_u32_e64 v10, v9, 16 clamp
	s_barrier_wait -1
	s_delay_alu instid0(VALU_DEP_2)
	v_min_i32_e32 v12, v9, v12
	ds_store_b16 v2, v11
	v_lshlrev_b32_e32 v11, 1, v3
	s_wait_dscnt 0x0
	s_barrier_signal -1
	s_barrier_wait -1
	v_cmpx_lt_i32_e64 v10, v12
	s_cbranch_execz .LBB18_20
; %bb.17:
	v_lshl_add_u32 v13, v9, 1, v11
	s_mov_b32 s1, 0
.LBB18_18:                              ; =>This Inner Loop Header: Depth=1
	v_sub_nc_u32_e32 v14, v12, v10
	s_delay_alu instid0(VALU_DEP_1) | instskip(NEXT) | instid1(VALU_DEP_1)
	v_lshrrev_b32_e32 v14, 1, v14
	v_add_nc_u32_e32 v14, v14, v10
	s_delay_alu instid0(VALU_DEP_1) | instskip(SKIP_1) | instid1(VALU_DEP_2)
	v_not_b32_e32 v15, v14
	v_lshl_add_u32 v16, v14, 1, v11
	v_lshl_add_u32 v15, v15, 1, v13
	ds_load_u16 v16, v16
	ds_load_u16 v15, v15 offset:32
	s_wait_dscnt 0x0
	v_cmp_gt_u16_e32 vcc_lo, v15, v16
	v_dual_cndmask_b32 v12, v12, v14 :: v_dual_add_nc_u32 v17, 1, v14
	s_delay_alu instid0(VALU_DEP_1) | instskip(NEXT) | instid1(VALU_DEP_1)
	v_cndmask_b32_e32 v10, v17, v10, vcc_lo
	v_cmp_ge_i32_e32 vcc_lo, v10, v12
	s_or_b32 s1, vcc_lo, s1
	s_delay_alu instid0(SALU_CYCLE_1)
	s_and_not1_b32 exec_lo, exec_lo, s1
	s_cbranch_execnz .LBB18_18
; %bb.19:
	s_or_b32 exec_lo, exec_lo, s1
.LBB18_20:
	s_delay_alu instid0(SALU_CYCLE_1) | instskip(SKIP_3) | instid1(VALU_DEP_3)
	s_or_b32 exec_lo, exec_lo, s0
	v_dual_add_nc_u32 v12, v3, v9 :: v_dual_add_nc_u32 v8, v8, v9
	v_lshl_add_u32 v11, v10, 1, v11
	v_cmp_lt_i32_e32 vcc_lo, 15, v10
	v_dual_add_nc_u32 v9, 32, v3 :: v_dual_sub_nc_u32 v12, v12, v10
	s_delay_alu instid0(VALU_DEP_1)
	v_dual_sub_nc_u32 v8, v8, v10 :: v_dual_lshlrev_b32 v12, 1, v12
	ds_load_u16 v11, v11
	ds_load_u16 v12, v12 offset:32
	v_cmp_gt_i32_e64 s0, v9, v8
	s_wait_dscnt 0x0
	s_barrier_signal -1
	s_barrier_wait -1
	ds_store_b8 v0, v1
	s_wait_dscnt 0x0
	s_barrier_signal -1
	s_barrier_wait -1
	v_cmp_gt_u16_e64 s1, v12, v11
	s_or_b32 s1, vcc_lo, s1
	s_delay_alu instid0(SALU_CYCLE_1) | instskip(NEXT) | instid1(SALU_CYCLE_1)
	s_and_b32 vcc_lo, s0, s1
	v_dual_add_nc_u32 v13, v10, v3 :: v_dual_cndmask_b32 v11, v11, v12, vcc_lo
	v_and_b32_e32 v3, 0x3c0, v0
	s_mov_b32 s0, exec_lo
	s_delay_alu instid0(VALU_DEP_1)
	v_dual_cndmask_b32 v1, v13, v8, vcc_lo :: v_dual_bitop2_b32 v8, 32, v3 bitop3:0x54
	v_and_b32_e32 v9, 63, v0
	ds_load_u8 v1, v1
	s_wait_dscnt 0x0
	v_sub_nc_u32_e32 v12, v8, v3
	s_barrier_signal -1
	v_sub_nc_u32_e64 v10, v9, 32 clamp
	s_barrier_wait -1
	s_delay_alu instid0(VALU_DEP_2)
	v_min_i32_e32 v12, v9, v12
	ds_store_b16 v2, v11
	v_lshlrev_b32_e32 v11, 1, v3
	s_wait_dscnt 0x0
	s_barrier_signal -1
	s_barrier_wait -1
	v_cmpx_lt_i32_e64 v10, v12
	s_cbranch_execz .LBB18_24
; %bb.21:
	v_lshl_add_u32 v13, v9, 1, v11
	s_mov_b32 s1, 0
.LBB18_22:                              ; =>This Inner Loop Header: Depth=1
	v_sub_nc_u32_e32 v14, v12, v10
	s_delay_alu instid0(VALU_DEP_1) | instskip(NEXT) | instid1(VALU_DEP_1)
	v_lshrrev_b32_e32 v14, 1, v14
	v_add_nc_u32_e32 v14, v14, v10
	s_delay_alu instid0(VALU_DEP_1) | instskip(SKIP_1) | instid1(VALU_DEP_2)
	v_not_b32_e32 v15, v14
	v_lshl_add_u32 v16, v14, 1, v11
	v_lshl_add_u32 v15, v15, 1, v13
	ds_load_u16 v16, v16
	ds_load_u16 v15, v15 offset:64
	s_wait_dscnt 0x0
	v_cmp_gt_u16_e32 vcc_lo, v15, v16
	v_dual_cndmask_b32 v12, v12, v14 :: v_dual_add_nc_u32 v17, 1, v14
	s_delay_alu instid0(VALU_DEP_1) | instskip(NEXT) | instid1(VALU_DEP_1)
	v_cndmask_b32_e32 v10, v17, v10, vcc_lo
	v_cmp_ge_i32_e32 vcc_lo, v10, v12
	s_or_b32 s1, vcc_lo, s1
	s_delay_alu instid0(SALU_CYCLE_1)
	s_and_not1_b32 exec_lo, exec_lo, s1
	s_cbranch_execnz .LBB18_22
; %bb.23:
	s_or_b32 exec_lo, exec_lo, s1
.LBB18_24:
	s_delay_alu instid0(SALU_CYCLE_1) | instskip(SKIP_3) | instid1(VALU_DEP_3)
	s_or_b32 exec_lo, exec_lo, s0
	v_dual_add_nc_u32 v12, v3, v9 :: v_dual_add_nc_u32 v8, v8, v9
	v_lshl_add_u32 v11, v10, 1, v11
	v_cmp_lt_i32_e32 vcc_lo, 31, v10
	v_dual_add_nc_u32 v9, 64, v3 :: v_dual_sub_nc_u32 v12, v12, v10
	s_delay_alu instid0(VALU_DEP_1)
	v_dual_sub_nc_u32 v8, v8, v10 :: v_dual_lshlrev_b32 v12, 1, v12
	ds_load_u16 v11, v11
	ds_load_u16 v12, v12 offset:64
	v_cmp_gt_i32_e64 s0, v9, v8
	s_wait_dscnt 0x0
	s_barrier_signal -1
	s_barrier_wait -1
	ds_store_b8 v0, v1
	s_wait_dscnt 0x0
	s_barrier_signal -1
	s_barrier_wait -1
	v_and_b32_e32 v9, 0x7f, v0
	v_cmp_gt_u16_e64 s1, v12, v11
	s_or_b32 s1, vcc_lo, s1
	s_delay_alu instid0(SALU_CYCLE_1) | instskip(NEXT) | instid1(SALU_CYCLE_1)
	s_and_b32 vcc_lo, s0, s1
	v_dual_add_nc_u32 v13, v10, v3 :: v_dual_cndmask_b32 v11, v11, v12, vcc_lo
	v_and_b32_e32 v3, 0x380, v0
	v_sub_nc_u32_e64 v10, v9, 64 clamp
	s_mov_b32 s0, exec_lo
	s_delay_alu instid0(VALU_DEP_2)
	v_dual_cndmask_b32 v1, v13, v8, vcc_lo :: v_dual_bitop2_b32 v8, 64, v3 bitop3:0x54
	ds_load_u8 v1, v1
	s_wait_dscnt 0x0
	v_sub_nc_u32_e32 v12, v8, v3
	s_barrier_signal -1
	s_barrier_wait -1
	ds_store_b16 v2, v11
	v_dual_lshlrev_b32 v11, 1, v3 :: v_dual_min_i32 v12, v9, v12
	s_wait_dscnt 0x0
	s_barrier_signal -1
	s_barrier_wait -1
	s_delay_alu instid0(VALU_DEP_1)
	v_cmpx_lt_i32_e64 v10, v12
	s_cbranch_execz .LBB18_28
; %bb.25:
	v_lshl_add_u32 v13, v9, 1, v11
	s_mov_b32 s1, 0
.LBB18_26:                              ; =>This Inner Loop Header: Depth=1
	v_sub_nc_u32_e32 v14, v12, v10
	s_delay_alu instid0(VALU_DEP_1) | instskip(NEXT) | instid1(VALU_DEP_1)
	v_lshrrev_b32_e32 v14, 1, v14
	v_add_nc_u32_e32 v14, v14, v10
	s_delay_alu instid0(VALU_DEP_1) | instskip(SKIP_1) | instid1(VALU_DEP_2)
	v_not_b32_e32 v15, v14
	v_lshl_add_u32 v16, v14, 1, v11
	v_lshl_add_u32 v15, v15, 1, v13
	ds_load_u16 v16, v16
	ds_load_u16 v15, v15 offset:128
	s_wait_dscnt 0x0
	v_cmp_gt_u16_e32 vcc_lo, v15, v16
	v_dual_cndmask_b32 v12, v12, v14 :: v_dual_add_nc_u32 v17, 1, v14
	s_delay_alu instid0(VALU_DEP_1) | instskip(NEXT) | instid1(VALU_DEP_1)
	v_cndmask_b32_e32 v10, v17, v10, vcc_lo
	v_cmp_ge_i32_e32 vcc_lo, v10, v12
	s_or_b32 s1, vcc_lo, s1
	s_delay_alu instid0(SALU_CYCLE_1)
	s_and_not1_b32 exec_lo, exec_lo, s1
	s_cbranch_execnz .LBB18_26
; %bb.27:
	s_or_b32 exec_lo, exec_lo, s1
.LBB18_28:
	s_delay_alu instid0(SALU_CYCLE_1) | instskip(SKIP_4) | instid1(VALU_DEP_4)
	s_or_b32 exec_lo, exec_lo, s0
	v_dual_add_nc_u32 v12, v3, v9 :: v_dual_add_nc_u32 v8, v8, v9
	v_lshl_add_u32 v11, v10, 1, v11
	v_add_nc_u32_e32 v9, 0x80, v3
	v_cmp_lt_i32_e32 vcc_lo, 63, v10
	v_dual_sub_nc_u32 v12, v12, v10 :: v_dual_add_nc_u32 v13, v10, v3
	v_and_b32_e32 v3, 0x300, v0
	s_delay_alu instid0(VALU_DEP_2)
	v_dual_sub_nc_u32 v8, v8, v10 :: v_dual_lshlrev_b32 v12, 1, v12
	ds_load_u16 v11, v11
	ds_load_u16 v12, v12 offset:128
	v_cmp_gt_i32_e64 s0, v9, v8
	s_wait_dscnt 0x0
	s_barrier_signal -1
	s_barrier_wait -1
	ds_store_b8 v0, v1
	s_wait_dscnt 0x0
	s_barrier_signal -1
	s_barrier_wait -1
	v_and_b32_e32 v9, 0xff, v0
	s_delay_alu instid0(VALU_DEP_1) | instskip(SKIP_2) | instid1(SALU_CYCLE_1)
	v_subrev_nc_u32_e64 v10, 0x80, v9 clamp
	v_cmp_gt_u16_e64 s1, v12, v11
	s_or_b32 s1, vcc_lo, s1
	s_and_b32 vcc_lo, s0, s1
	s_mov_b32 s0, exec_lo
	v_cndmask_b32_e32 v1, v13, v8, vcc_lo
	v_or_b32_e32 v8, 0x80, v3
	v_cndmask_b32_e32 v11, v11, v12, vcc_lo
	ds_load_u8 v1, v1
	v_sub_nc_u32_e32 v12, v8, v3
	s_wait_dscnt 0x0
	s_barrier_signal -1
	s_barrier_wait -1
	s_delay_alu instid0(VALU_DEP_1)
	v_min_i32_e32 v12, v9, v12
	ds_store_b16 v2, v11
	v_lshlrev_b32_e32 v11, 1, v3
	s_wait_dscnt 0x0
	s_barrier_signal -1
	s_barrier_wait -1
	v_cmpx_lt_i32_e64 v10, v12
	s_cbranch_execz .LBB18_32
; %bb.29:
	v_lshl_add_u32 v13, v9, 1, v11
	s_mov_b32 s1, 0
.LBB18_30:                              ; =>This Inner Loop Header: Depth=1
	v_sub_nc_u32_e32 v14, v12, v10
	s_delay_alu instid0(VALU_DEP_1) | instskip(NEXT) | instid1(VALU_DEP_1)
	v_lshrrev_b32_e32 v14, 1, v14
	v_add_nc_u32_e32 v14, v14, v10
	s_delay_alu instid0(VALU_DEP_1) | instskip(SKIP_1) | instid1(VALU_DEP_2)
	v_not_b32_e32 v15, v14
	v_lshl_add_u32 v16, v14, 1, v11
	v_lshl_add_u32 v15, v15, 1, v13
	ds_load_u16 v16, v16
	ds_load_u16 v15, v15 offset:256
	s_wait_dscnt 0x0
	v_cmp_gt_u16_e32 vcc_lo, v15, v16
	v_dual_cndmask_b32 v12, v12, v14 :: v_dual_add_nc_u32 v17, 1, v14
	s_delay_alu instid0(VALU_DEP_1) | instskip(NEXT) | instid1(VALU_DEP_1)
	v_cndmask_b32_e32 v10, v17, v10, vcc_lo
	v_cmp_ge_i32_e32 vcc_lo, v10, v12
	s_or_b32 s1, vcc_lo, s1
	s_delay_alu instid0(SALU_CYCLE_1)
	s_and_not1_b32 exec_lo, exec_lo, s1
	s_cbranch_execnz .LBB18_30
; %bb.31:
	s_or_b32 exec_lo, exec_lo, s1
.LBB18_32:
	s_delay_alu instid0(SALU_CYCLE_1) | instskip(SKIP_4) | instid1(VALU_DEP_4)
	s_or_b32 exec_lo, exec_lo, s0
	v_dual_add_nc_u32 v12, v3, v9 :: v_dual_add_nc_u32 v8, v8, v9
	v_lshl_add_u32 v11, v10, 1, v11
	v_add_nc_u32_e32 v9, 0x100, v3
	v_cmp_lt_i32_e32 vcc_lo, 0x7f, v10
	v_dual_sub_nc_u32 v12, v12, v10 :: v_dual_add_nc_u32 v13, v10, v3
	v_and_b32_e32 v3, 0x200, v0
	s_delay_alu instid0(VALU_DEP_2)
	v_dual_sub_nc_u32 v8, v8, v10 :: v_dual_lshlrev_b32 v12, 1, v12
	ds_load_u16 v11, v11
	ds_load_u16 v12, v12 offset:256
	v_cmp_gt_i32_e64 s0, v9, v8
	s_wait_dscnt 0x0
	s_barrier_signal -1
	s_barrier_wait -1
	ds_store_b8 v0, v1
	s_wait_dscnt 0x0
	s_barrier_signal -1
	s_barrier_wait -1
	v_and_b32_e32 v9, 0x1ff, v0
	s_delay_alu instid0(VALU_DEP_1) | instskip(SKIP_2) | instid1(SALU_CYCLE_1)
	v_subrev_nc_u32_e64 v10, 0x100, v9 clamp
	v_cmp_gt_u16_e64 s1, v12, v11
	s_or_b32 s1, vcc_lo, s1
	s_and_b32 vcc_lo, s0, s1
	s_mov_b32 s0, exec_lo
	v_cndmask_b32_e32 v1, v13, v8, vcc_lo
	v_or_b32_e32 v8, 0x100, v3
	v_cndmask_b32_e32 v11, v11, v12, vcc_lo
	ds_load_u8 v1, v1
	v_sub_nc_u32_e32 v12, v8, v3
	s_wait_dscnt 0x0
	s_barrier_signal -1
	s_barrier_wait -1
	s_delay_alu instid0(VALU_DEP_1)
	v_min_i32_e32 v12, v9, v12
	ds_store_b16 v2, v11
	v_lshlrev_b32_e32 v11, 1, v3
	s_wait_dscnt 0x0
	s_barrier_signal -1
	s_barrier_wait -1
	v_cmpx_lt_i32_e64 v10, v12
	s_cbranch_execz .LBB18_36
; %bb.33:
	v_lshl_add_u32 v13, v9, 1, v11
	s_mov_b32 s1, 0
.LBB18_34:                              ; =>This Inner Loop Header: Depth=1
	v_sub_nc_u32_e32 v14, v12, v10
	s_delay_alu instid0(VALU_DEP_1) | instskip(NEXT) | instid1(VALU_DEP_1)
	v_lshrrev_b32_e32 v14, 1, v14
	v_add_nc_u32_e32 v14, v14, v10
	s_delay_alu instid0(VALU_DEP_1) | instskip(SKIP_1) | instid1(VALU_DEP_2)
	v_not_b32_e32 v15, v14
	v_lshl_add_u32 v16, v14, 1, v11
	v_lshl_add_u32 v15, v15, 1, v13
	ds_load_u16 v16, v16
	ds_load_u16 v15, v15 offset:512
	s_wait_dscnt 0x0
	v_cmp_gt_u16_e32 vcc_lo, v15, v16
	v_dual_cndmask_b32 v12, v12, v14 :: v_dual_add_nc_u32 v17, 1, v14
	s_delay_alu instid0(VALU_DEP_1) | instskip(NEXT) | instid1(VALU_DEP_1)
	v_cndmask_b32_e32 v10, v17, v10, vcc_lo
	v_cmp_ge_i32_e32 vcc_lo, v10, v12
	s_or_b32 s1, vcc_lo, s1
	s_delay_alu instid0(SALU_CYCLE_1)
	s_and_not1_b32 exec_lo, exec_lo, s1
	s_cbranch_execnz .LBB18_34
; %bb.35:
	s_or_b32 exec_lo, exec_lo, s1
.LBB18_36:
	s_delay_alu instid0(SALU_CYCLE_1) | instskip(SKIP_4) | instid1(VALU_DEP_4)
	s_or_b32 exec_lo, exec_lo, s0
	v_dual_add_nc_u32 v12, v3, v9 :: v_dual_add_nc_u32 v8, v8, v9
	v_lshl_add_u32 v11, v10, 1, v11
	v_add_nc_u32_e32 v9, 0x200, v3
	v_cmp_lt_i32_e32 vcc_lo, 0xff, v10
	v_dual_sub_nc_u32 v12, v12, v10 :: v_dual_add_nc_u32 v3, v10, v3
	s_delay_alu instid0(VALU_DEP_1)
	v_dual_sub_nc_u32 v8, v8, v10 :: v_dual_lshlrev_b32 v12, 1, v12
	ds_load_u16 v11, v11
	ds_load_u16 v12, v12 offset:512
	v_cmp_gt_i32_e64 s1, v9, v8
	s_wait_dscnt 0x0
	s_barrier_signal -1
	s_barrier_wait -1
	ds_store_b8 v0, v1
	s_wait_dscnt 0x0
	s_barrier_signal -1
	s_barrier_wait -1
	v_cmp_gt_u16_e64 s0, v12, v11
	s_or_b32 s0, vcc_lo, s0
	s_delay_alu instid0(SALU_CYCLE_1)
	s_and_b32 vcc_lo, s1, s0
	s_mov_b32 s0, exec_lo
	v_cndmask_b32_e32 v3, v3, v8, vcc_lo
	v_cndmask_b32_e32 v9, v11, v12, vcc_lo
	v_min_u32_e32 v8, 0x200, v0
	ds_load_u8 v1, v3
	v_subrev_nc_u32_e64 v3, 0x200, v0 clamp
	s_wait_dscnt 0x0
	s_barrier_signal -1
	s_barrier_wait -1
	ds_store_b16 v2, v9
	s_wait_dscnt 0x0
	s_barrier_signal -1
	s_barrier_wait -1
	v_cmpx_lt_u32_e64 v3, v8
	s_cbranch_execz .LBB18_40
; %bb.37:
	s_mov_b32 s1, 0
.LBB18_38:                              ; =>This Inner Loop Header: Depth=1
	v_sub_nc_u32_e32 v9, v8, v3
	s_delay_alu instid0(VALU_DEP_1) | instskip(NEXT) | instid1(VALU_DEP_1)
	v_lshrrev_b32_e32 v9, 1, v9
	v_add_nc_u32_e32 v9, v9, v3
	s_delay_alu instid0(VALU_DEP_1) | instskip(SKIP_1) | instid1(VALU_DEP_2)
	v_not_b32_e32 v10, v9
	v_dual_lshlrev_b32 v11, 1, v9 :: v_dual_add_nc_u32 v12, 1, v9
	v_lshl_add_u32 v10, v10, 1, v2
	ds_load_u16 v11, v11
	ds_load_u16 v10, v10 offset:1024
	s_wait_dscnt 0x0
	v_cmp_gt_u16_e32 vcc_lo, v10, v11
	v_cndmask_b32_e32 v8, v8, v9, vcc_lo
	v_cndmask_b32_e32 v3, v12, v3, vcc_lo
	s_delay_alu instid0(VALU_DEP_1) | instskip(SKIP_1) | instid1(SALU_CYCLE_1)
	v_cmp_ge_i32_e32 vcc_lo, v3, v8
	s_or_b32 s1, vcc_lo, s1
	s_and_not1_b32 exec_lo, exec_lo, s1
	s_cbranch_execnz .LBB18_38
; %bb.39:
	s_or_b32 exec_lo, exec_lo, s1
.LBB18_40:
	s_delay_alu instid0(SALU_CYCLE_1) | instskip(SKIP_2) | instid1(VALU_DEP_2)
	s_or_b32 exec_lo, exec_lo, s0
	v_dual_sub_nc_u32 v2, v0, v3 :: v_dual_lshlrev_b32 v8, 1, v3
	v_cmp_lt_i32_e32 vcc_lo, 0x1ff, v3
	v_lshlrev_b32_e32 v9, 1, v2
	v_add_nc_u32_e32 v2, 0x200, v2
	ds_load_u16 v8, v8
	ds_load_u16 v9, v9 offset:1024
	s_wait_dscnt 0x0
	v_cmp_gt_i32_e64 s1, 0x400, v2
	s_barrier_signal -1
	s_barrier_wait -1
	ds_store_b8 v0, v1
	s_wait_dscnt 0x0
	s_barrier_signal -1
	s_barrier_wait -1
	v_cmp_gt_u16_e64 s0, v9, v8
	s_or_b32 s0, vcc_lo, s0
	s_delay_alu instid0(SALU_CYCLE_1) | instskip(NEXT) | instid1(SALU_CYCLE_1)
	s_and_b32 vcc_lo, s1, s0
	v_dual_cndmask_b32 v2, v3, v2, vcc_lo :: v_dual_cndmask_b32 v8, v8, v9, vcc_lo
	ds_load_u8 v0, v2
	global_store_b16 v[4:5], v8, off
	s_wait_dscnt 0x0
	global_store_b8 v[6:7], v0, off
	s_endpgm
	.section	.rodata,"a",@progbits
	.p2align	6, 0x0
	.amdhsa_kernel _Z21sort_key_value_kernelILj1024ELj1EtcN10test_utils7greaterEEvPT1_PT2_T3_
		.amdhsa_group_segment_fixed_size 2050
		.amdhsa_private_segment_fixed_size 0
		.amdhsa_kernarg_size 20
		.amdhsa_user_sgpr_count 2
		.amdhsa_user_sgpr_dispatch_ptr 0
		.amdhsa_user_sgpr_queue_ptr 0
		.amdhsa_user_sgpr_kernarg_segment_ptr 1
		.amdhsa_user_sgpr_dispatch_id 0
		.amdhsa_user_sgpr_kernarg_preload_length 0
		.amdhsa_user_sgpr_kernarg_preload_offset 0
		.amdhsa_user_sgpr_private_segment_size 0
		.amdhsa_wavefront_size32 1
		.amdhsa_uses_dynamic_stack 0
		.amdhsa_enable_private_segment 0
		.amdhsa_system_sgpr_workgroup_id_x 1
		.amdhsa_system_sgpr_workgroup_id_y 0
		.amdhsa_system_sgpr_workgroup_id_z 0
		.amdhsa_system_sgpr_workgroup_info 0
		.amdhsa_system_vgpr_workitem_id 0
		.amdhsa_next_free_vgpr 18
		.amdhsa_next_free_sgpr 8
		.amdhsa_named_barrier_count 0
		.amdhsa_reserve_vcc 1
		.amdhsa_float_round_mode_32 0
		.amdhsa_float_round_mode_16_64 0
		.amdhsa_float_denorm_mode_32 3
		.amdhsa_float_denorm_mode_16_64 3
		.amdhsa_fp16_overflow 0
		.amdhsa_memory_ordered 1
		.amdhsa_forward_progress 1
		.amdhsa_inst_pref_size 30
		.amdhsa_round_robin_scheduling 0
		.amdhsa_exception_fp_ieee_invalid_op 0
		.amdhsa_exception_fp_denorm_src 0
		.amdhsa_exception_fp_ieee_div_zero 0
		.amdhsa_exception_fp_ieee_overflow 0
		.amdhsa_exception_fp_ieee_underflow 0
		.amdhsa_exception_fp_ieee_inexact 0
		.amdhsa_exception_int_div_zero 0
	.end_amdhsa_kernel
	.section	.text._Z21sort_key_value_kernelILj1024ELj1EtcN10test_utils7greaterEEvPT1_PT2_T3_,"axG",@progbits,_Z21sort_key_value_kernelILj1024ELj1EtcN10test_utils7greaterEEvPT1_PT2_T3_,comdat
.Lfunc_end18:
	.size	_Z21sort_key_value_kernelILj1024ELj1EtcN10test_utils7greaterEEvPT1_PT2_T3_, .Lfunc_end18-_Z21sort_key_value_kernelILj1024ELj1EtcN10test_utils7greaterEEvPT1_PT2_T3_
                                        ; -- End function
	.set _Z21sort_key_value_kernelILj1024ELj1EtcN10test_utils7greaterEEvPT1_PT2_T3_.num_vgpr, 18
	.set _Z21sort_key_value_kernelILj1024ELj1EtcN10test_utils7greaterEEvPT1_PT2_T3_.num_agpr, 0
	.set _Z21sort_key_value_kernelILj1024ELj1EtcN10test_utils7greaterEEvPT1_PT2_T3_.numbered_sgpr, 8
	.set _Z21sort_key_value_kernelILj1024ELj1EtcN10test_utils7greaterEEvPT1_PT2_T3_.num_named_barrier, 0
	.set _Z21sort_key_value_kernelILj1024ELj1EtcN10test_utils7greaterEEvPT1_PT2_T3_.private_seg_size, 0
	.set _Z21sort_key_value_kernelILj1024ELj1EtcN10test_utils7greaterEEvPT1_PT2_T3_.uses_vcc, 1
	.set _Z21sort_key_value_kernelILj1024ELj1EtcN10test_utils7greaterEEvPT1_PT2_T3_.uses_flat_scratch, 0
	.set _Z21sort_key_value_kernelILj1024ELj1EtcN10test_utils7greaterEEvPT1_PT2_T3_.has_dyn_sized_stack, 0
	.set _Z21sort_key_value_kernelILj1024ELj1EtcN10test_utils7greaterEEvPT1_PT2_T3_.has_recursion, 0
	.set _Z21sort_key_value_kernelILj1024ELj1EtcN10test_utils7greaterEEvPT1_PT2_T3_.has_indirect_call, 0
	.section	.AMDGPU.csdata,"",@progbits
; Kernel info:
; codeLenInByte = 3828
; TotalNumSgprs: 10
; NumVgprs: 18
; ScratchSize: 0
; MemoryBound: 0
; FloatMode: 240
; IeeeMode: 1
; LDSByteSize: 2050 bytes/workgroup (compile time only)
; SGPRBlocks: 0
; VGPRBlocks: 1
; NumSGPRsForWavesPerEU: 10
; NumVGPRsForWavesPerEU: 18
; NamedBarCnt: 0
; Occupancy: 16
; WaveLimiterHint : 0
; COMPUTE_PGM_RSRC2:SCRATCH_EN: 0
; COMPUTE_PGM_RSRC2:USER_SGPR: 2
; COMPUTE_PGM_RSRC2:TRAP_HANDLER: 0
; COMPUTE_PGM_RSRC2:TGID_X_EN: 1
; COMPUTE_PGM_RSRC2:TGID_Y_EN: 0
; COMPUTE_PGM_RSRC2:TGID_Z_EN: 0
; COMPUTE_PGM_RSRC2:TIDIG_COMP_CNT: 0
	.section	.text._Z21sort_key_value_kernelILj256ELj1EjiN10test_utils4lessEEvPT1_PT2_T3_,"axG",@progbits,_Z21sort_key_value_kernelILj256ELj1EjiN10test_utils4lessEEvPT1_PT2_T3_,comdat
	.protected	_Z21sort_key_value_kernelILj256ELj1EjiN10test_utils4lessEEvPT1_PT2_T3_ ; -- Begin function _Z21sort_key_value_kernelILj256ELj1EjiN10test_utils4lessEEvPT1_PT2_T3_
	.globl	_Z21sort_key_value_kernelILj256ELj1EjiN10test_utils4lessEEvPT1_PT2_T3_
	.p2align	8
	.type	_Z21sort_key_value_kernelILj256ELj1EjiN10test_utils4lessEEvPT1_PT2_T3_,@function
_Z21sort_key_value_kernelILj256ELj1EjiN10test_utils4lessEEvPT1_PT2_T3_: ; @_Z21sort_key_value_kernelILj256ELj1EjiN10test_utils4lessEEvPT1_PT2_T3_
; %bb.0:
	s_load_b128 s[4:7], s[0:1], 0x0
	s_wait_xcnt 0x0
	s_bfe_u32 s0, ttmp6, 0x4000c
	s_and_b32 s1, ttmp6, 15
	s_add_co_i32 s0, s0, 1
	s_getreg_b32 s2, hwreg(HW_REG_IB_STS2, 6, 4)
	s_mul_i32 s0, ttmp9, s0
	s_mov_b32 s3, 0
	s_add_co_i32 s1, s1, s0
	s_cmp_eq_u32 s2, 0
	v_and_b32_e32 v9, 0xfe, v0
	s_cselect_b32 s0, ttmp9, s1
	v_dual_mov_b32 v3, 0 :: v_dual_bitop2_b32 v10, 1, v0 bitop3:0x40
	s_lshl_b32 s2, s0, 8
	s_delay_alu instid0(VALU_DEP_2) | instskip(SKIP_1) | instid1(VALU_DEP_2)
	v_or_b32_e32 v8, 1, v9
	s_lshl_b64 s[8:9], s[2:3], 2
	v_add_nc_u32_e32 v4, -1, v10
	v_cmp_lt_i32_e32 vcc_lo, 0, v10
	s_delay_alu instid0(VALU_DEP_3)
	v_dual_lshlrev_b32 v2, 2, v0 :: v_dual_sub_nc_u32 v6, v8, v9
	s_wait_kmcnt 0x0
	s_add_nc_u64 s[0:1], s[4:5], s[8:9]
	s_add_nc_u64 s[4:5], s[6:7], s[8:9]
	s_clause 0x1
	global_load_b32 v5, v0, s[0:1] scale_offset
	global_load_b32 v1, v0, s[4:5] scale_offset
	v_dual_cndmask_b32 v11, 0, v4 :: v_dual_lshlrev_b32 v12, 2, v9
	v_min_i32_e32 v4, v10, v6
	s_mov_b32 s2, exec_lo
	s_wait_loadcnt 0x0
	s_barrier_signal -1
	s_barrier_wait -1
	ds_store_b32 v2, v5
	s_wait_dscnt 0x0
	s_barrier_signal -1
	s_barrier_wait -1
	s_wait_xcnt 0x0
	v_cmpx_lt_i32_e64 v11, v4
	s_cbranch_execz .LBB19_4
; %bb.1:
	v_lshlrev_b32_e32 v5, 2, v10
	s_delay_alu instid0(VALU_DEP_1)
	v_lshl_add_u32 v5, v8, 2, v5
.LBB19_2:                               ; =>This Inner Loop Header: Depth=1
	v_sub_nc_u32_e32 v6, v4, v11
	s_delay_alu instid0(VALU_DEP_1) | instskip(NEXT) | instid1(VALU_DEP_1)
	v_lshrrev_b32_e32 v6, 1, v6
	v_add_nc_u32_e32 v6, v6, v11
	s_delay_alu instid0(VALU_DEP_1) | instskip(SKIP_1) | instid1(VALU_DEP_2)
	v_not_b32_e32 v7, v6
	v_lshl_add_u32 v13, v6, 2, v12
	v_lshl_add_u32 v7, v7, 2, v5
	ds_load_b32 v13, v13
	ds_load_b32 v7, v7
	s_wait_dscnt 0x0
	v_cmp_lt_u32_e32 vcc_lo, v7, v13
	v_dual_add_nc_u32 v14, 1, v6 :: v_dual_cndmask_b32 v4, v4, v6, vcc_lo
	s_delay_alu instid0(VALU_DEP_1) | instskip(NEXT) | instid1(VALU_DEP_1)
	v_cndmask_b32_e32 v11, v14, v11, vcc_lo
	v_cmp_ge_i32_e32 vcc_lo, v11, v4
	s_or_b32 s3, vcc_lo, s3
	s_delay_alu instid0(SALU_CYCLE_1)
	s_and_not1_b32 exec_lo, exec_lo, s3
	s_cbranch_execnz .LBB19_2
; %bb.3:
	s_or_b32 exec_lo, exec_lo, s3
.LBB19_4:
	s_delay_alu instid0(SALU_CYCLE_1) | instskip(SKIP_4) | instid1(VALU_DEP_2)
	s_or_b32 exec_lo, exec_lo, s2
	v_add_nc_u64_e32 v[4:5], s[0:1], v[2:3]
	v_add_nc_u64_e32 v[6:7], s[4:5], v[2:3]
	v_add_nc_u32_e32 v3, v8, v10
	v_lshl_add_u32 v10, v11, 2, v12
	v_sub_nc_u32_e32 v3, v3, v11
	v_add_nc_u32_e32 v11, v11, v9
	v_and_b32_e32 v9, 0xfc, v0
	s_delay_alu instid0(VALU_DEP_3) | instskip(NEXT) | instid1(VALU_DEP_3)
	v_lshlrev_b32_e32 v12, 2, v3
	v_cmp_le_i32_e32 vcc_lo, v8, v11
	ds_load_b32 v10, v10
	ds_load_b32 v12, v12
	v_cmp_ge_i32_e64 s1, v8, v3
	s_wait_dscnt 0x0
	s_barrier_signal -1
	s_barrier_wait -1
	ds_store_b32 v2, v1
	s_wait_dscnt 0x0
	s_barrier_signal -1
	v_or_b32_e32 v8, 2, v9
	s_barrier_wait -1
	v_cmp_lt_u32_e64 s0, v12, v10
	s_or_b32 s0, vcc_lo, s0
	s_delay_alu instid0(SALU_CYCLE_1) | instskip(SKIP_4) | instid1(VALU_DEP_2)
	s_and_b32 vcc_lo, s1, s0
	s_mov_b32 s1, 0
	v_dual_cndmask_b32 v12, v10, v12, vcc_lo :: v_dual_cndmask_b32 v10, v11, v3, vcc_lo
	v_dual_add_nc_u32 v3, 4, v9 :: v_dual_sub_nc_u32 v14, v8, v9
	s_mov_b32 s0, exec_lo
	v_dual_lshlrev_b32 v1, 2, v10 :: v_dual_bitop2_b32 v10, 3, v0 bitop3:0x40
	s_delay_alu instid0(VALU_DEP_2)
	v_sub_nc_u32_e32 v11, v3, v8
	ds_load_b32 v1, v1
	s_wait_dscnt 0x0
	v_sub_nc_u32_e32 v13, v10, v11
	v_cmp_ge_i32_e32 vcc_lo, v10, v11
	s_barrier_signal -1
	s_barrier_wait -1
	ds_store_b32 v2, v12
	v_lshlrev_b32_e32 v12, 2, v9
	v_dual_cndmask_b32 v11, 0, v13, vcc_lo :: v_dual_min_i32 v13, v10, v14
	s_wait_dscnt 0x0
	s_barrier_signal -1
	s_barrier_wait -1
	s_delay_alu instid0(VALU_DEP_1)
	v_cmpx_lt_i32_e64 v11, v13
	s_cbranch_execz .LBB19_8
; %bb.5:
	v_lshlrev_b32_e32 v14, 2, v10
	s_delay_alu instid0(VALU_DEP_1)
	v_lshl_add_u32 v14, v8, 2, v14
.LBB19_6:                               ; =>This Inner Loop Header: Depth=1
	v_sub_nc_u32_e32 v15, v13, v11
	s_delay_alu instid0(VALU_DEP_1) | instskip(NEXT) | instid1(VALU_DEP_1)
	v_lshrrev_b32_e32 v15, 1, v15
	v_add_nc_u32_e32 v15, v15, v11
	s_delay_alu instid0(VALU_DEP_1) | instskip(SKIP_1) | instid1(VALU_DEP_2)
	v_not_b32_e32 v16, v15
	v_lshl_add_u32 v17, v15, 2, v12
	v_lshl_add_u32 v16, v16, 2, v14
	ds_load_b32 v17, v17
	ds_load_b32 v16, v16
	s_wait_dscnt 0x0
	v_cmp_lt_u32_e32 vcc_lo, v16, v17
	v_dual_cndmask_b32 v13, v13, v15 :: v_dual_add_nc_u32 v18, 1, v15
	s_delay_alu instid0(VALU_DEP_1) | instskip(NEXT) | instid1(VALU_DEP_1)
	v_cndmask_b32_e32 v11, v18, v11, vcc_lo
	v_cmp_ge_i32_e32 vcc_lo, v11, v13
	s_or_b32 s1, vcc_lo, s1
	s_delay_alu instid0(SALU_CYCLE_1)
	s_and_not1_b32 exec_lo, exec_lo, s1
	s_cbranch_execnz .LBB19_6
; %bb.7:
	s_or_b32 exec_lo, exec_lo, s1
.LBB19_8:
	s_delay_alu instid0(SALU_CYCLE_1) | instskip(SKIP_2) | instid1(VALU_DEP_2)
	s_or_b32 exec_lo, exec_lo, s0
	v_add_nc_u32_e32 v10, v8, v10
	v_lshl_add_u32 v12, v11, 2, v12
	v_dual_sub_nc_u32 v10, v10, v11 :: v_dual_add_nc_u32 v11, v11, v9
	v_and_b32_e32 v9, 0xf8, v0
	s_delay_alu instid0(VALU_DEP_2) | instskip(NEXT) | instid1(VALU_DEP_3)
	v_lshlrev_b32_e32 v13, 2, v10
	v_cmp_le_i32_e32 vcc_lo, v8, v11
	v_cmp_gt_i32_e64 s1, v3, v10
	s_delay_alu instid0(VALU_DEP_4)
	v_dual_add_nc_u32 v3, 8, v9 :: v_dual_bitop2_b32 v8, 4, v9 bitop3:0x54
	ds_load_b32 v12, v12
	ds_load_b32 v13, v13
	s_wait_dscnt 0x0
	s_barrier_signal -1
	s_barrier_wait -1
	ds_store_b32 v2, v1
	s_wait_dscnt 0x0
	s_barrier_signal -1
	s_barrier_wait -1
	v_sub_nc_u32_e32 v14, v8, v9
	v_cmp_lt_u32_e64 s0, v13, v12
	s_or_b32 s0, vcc_lo, s0
	s_delay_alu instid0(SALU_CYCLE_1) | instskip(SKIP_4) | instid1(VALU_DEP_2)
	s_and_b32 vcc_lo, s1, s0
	s_mov_b32 s1, 0
	v_dual_cndmask_b32 v12, v12, v13, vcc_lo :: v_dual_cndmask_b32 v10, v11, v10, vcc_lo
	v_sub_nc_u32_e32 v11, v3, v8
	s_mov_b32 s0, exec_lo
	v_dual_lshlrev_b32 v1, 2, v10 :: v_dual_bitop2_b32 v10, 7, v0 bitop3:0x40
	ds_load_b32 v1, v1
	v_sub_nc_u32_e32 v13, v10, v11
	v_cmp_ge_i32_e32 vcc_lo, v10, v11
	s_wait_dscnt 0x0
	s_barrier_signal -1
	s_barrier_wait -1
	ds_store_b32 v2, v12
	v_lshlrev_b32_e32 v12, 2, v9
	v_dual_cndmask_b32 v11, 0, v13, vcc_lo :: v_dual_min_i32 v13, v10, v14
	s_wait_dscnt 0x0
	s_barrier_signal -1
	s_barrier_wait -1
	s_delay_alu instid0(VALU_DEP_1)
	v_cmpx_lt_i32_e64 v11, v13
	s_cbranch_execz .LBB19_12
; %bb.9:
	v_lshlrev_b32_e32 v14, 2, v10
	s_delay_alu instid0(VALU_DEP_1)
	v_lshl_add_u32 v14, v8, 2, v14
.LBB19_10:                              ; =>This Inner Loop Header: Depth=1
	v_sub_nc_u32_e32 v15, v13, v11
	s_delay_alu instid0(VALU_DEP_1) | instskip(NEXT) | instid1(VALU_DEP_1)
	v_lshrrev_b32_e32 v15, 1, v15
	v_add_nc_u32_e32 v15, v15, v11
	s_delay_alu instid0(VALU_DEP_1) | instskip(SKIP_1) | instid1(VALU_DEP_2)
	v_not_b32_e32 v16, v15
	v_lshl_add_u32 v17, v15, 2, v12
	v_lshl_add_u32 v16, v16, 2, v14
	ds_load_b32 v17, v17
	ds_load_b32 v16, v16
	s_wait_dscnt 0x0
	v_cmp_lt_u32_e32 vcc_lo, v16, v17
	v_dual_cndmask_b32 v13, v13, v15 :: v_dual_add_nc_u32 v18, 1, v15
	s_delay_alu instid0(VALU_DEP_1) | instskip(NEXT) | instid1(VALU_DEP_1)
	v_cndmask_b32_e32 v11, v18, v11, vcc_lo
	v_cmp_ge_i32_e32 vcc_lo, v11, v13
	s_or_b32 s1, vcc_lo, s1
	s_delay_alu instid0(SALU_CYCLE_1)
	s_and_not1_b32 exec_lo, exec_lo, s1
	s_cbranch_execnz .LBB19_10
; %bb.11:
	s_or_b32 exec_lo, exec_lo, s1
.LBB19_12:
	s_delay_alu instid0(SALU_CYCLE_1) | instskip(SKIP_2) | instid1(VALU_DEP_2)
	s_or_b32 exec_lo, exec_lo, s0
	v_add_nc_u32_e32 v10, v8, v10
	v_lshl_add_u32 v12, v11, 2, v12
	v_dual_sub_nc_u32 v10, v10, v11 :: v_dual_add_nc_u32 v11, v11, v9
	v_and_b32_e32 v9, 0xf0, v0
	s_delay_alu instid0(VALU_DEP_2) | instskip(NEXT) | instid1(VALU_DEP_3)
	v_lshlrev_b32_e32 v13, 2, v10
	v_cmp_le_i32_e32 vcc_lo, v8, v11
	v_cmp_gt_i32_e64 s1, v3, v10
	s_delay_alu instid0(VALU_DEP_4)
	v_dual_add_nc_u32 v3, 16, v9 :: v_dual_bitop2_b32 v8, 8, v9 bitop3:0x54
	ds_load_b32 v12, v12
	ds_load_b32 v13, v13
	s_wait_dscnt 0x0
	s_barrier_signal -1
	s_barrier_wait -1
	ds_store_b32 v2, v1
	s_wait_dscnt 0x0
	s_barrier_signal -1
	s_barrier_wait -1
	v_sub_nc_u32_e32 v14, v8, v9
	v_cmp_lt_u32_e64 s0, v13, v12
	s_or_b32 s0, vcc_lo, s0
	s_delay_alu instid0(SALU_CYCLE_1) | instskip(SKIP_4) | instid1(VALU_DEP_2)
	s_and_b32 vcc_lo, s1, s0
	s_mov_b32 s1, 0
	v_dual_cndmask_b32 v12, v12, v13, vcc_lo :: v_dual_cndmask_b32 v10, v11, v10, vcc_lo
	v_sub_nc_u32_e32 v11, v3, v8
	s_mov_b32 s0, exec_lo
	v_dual_lshlrev_b32 v1, 2, v10 :: v_dual_bitop2_b32 v10, 15, v0 bitop3:0x40
	ds_load_b32 v1, v1
	v_sub_nc_u32_e32 v13, v10, v11
	v_cmp_ge_i32_e32 vcc_lo, v10, v11
	s_wait_dscnt 0x0
	s_barrier_signal -1
	s_barrier_wait -1
	ds_store_b32 v2, v12
	v_lshlrev_b32_e32 v12, 2, v9
	v_dual_cndmask_b32 v11, 0, v13, vcc_lo :: v_dual_min_i32 v13, v10, v14
	s_wait_dscnt 0x0
	s_barrier_signal -1
	s_barrier_wait -1
	s_delay_alu instid0(VALU_DEP_1)
	v_cmpx_lt_i32_e64 v11, v13
	s_cbranch_execz .LBB19_16
; %bb.13:
	v_lshlrev_b32_e32 v14, 2, v10
	s_delay_alu instid0(VALU_DEP_1)
	v_lshl_add_u32 v14, v8, 2, v14
.LBB19_14:                              ; =>This Inner Loop Header: Depth=1
	v_sub_nc_u32_e32 v15, v13, v11
	s_delay_alu instid0(VALU_DEP_1) | instskip(NEXT) | instid1(VALU_DEP_1)
	v_lshrrev_b32_e32 v15, 1, v15
	v_add_nc_u32_e32 v15, v15, v11
	s_delay_alu instid0(VALU_DEP_1) | instskip(SKIP_1) | instid1(VALU_DEP_2)
	v_not_b32_e32 v16, v15
	v_lshl_add_u32 v17, v15, 2, v12
	v_lshl_add_u32 v16, v16, 2, v14
	ds_load_b32 v17, v17
	ds_load_b32 v16, v16
	s_wait_dscnt 0x0
	v_cmp_lt_u32_e32 vcc_lo, v16, v17
	v_dual_cndmask_b32 v13, v13, v15 :: v_dual_add_nc_u32 v18, 1, v15
	s_delay_alu instid0(VALU_DEP_1) | instskip(NEXT) | instid1(VALU_DEP_1)
	v_cndmask_b32_e32 v11, v18, v11, vcc_lo
	v_cmp_ge_i32_e32 vcc_lo, v11, v13
	s_or_b32 s1, vcc_lo, s1
	s_delay_alu instid0(SALU_CYCLE_1)
	s_and_not1_b32 exec_lo, exec_lo, s1
	s_cbranch_execnz .LBB19_14
; %bb.15:
	s_or_b32 exec_lo, exec_lo, s1
.LBB19_16:
	s_delay_alu instid0(SALU_CYCLE_1) | instskip(SKIP_2) | instid1(VALU_DEP_2)
	s_or_b32 exec_lo, exec_lo, s0
	v_add_nc_u32_e32 v10, v8, v10
	v_lshl_add_u32 v12, v11, 2, v12
	v_dual_sub_nc_u32 v10, v10, v11 :: v_dual_add_nc_u32 v11, v11, v9
	v_and_b32_e32 v9, 0xe0, v0
	s_delay_alu instid0(VALU_DEP_2) | instskip(NEXT) | instid1(VALU_DEP_3)
	v_lshlrev_b32_e32 v13, 2, v10
	v_cmp_le_i32_e32 vcc_lo, v8, v11
	v_cmp_gt_i32_e64 s1, v3, v10
	s_delay_alu instid0(VALU_DEP_4)
	v_dual_add_nc_u32 v3, 32, v9 :: v_dual_bitop2_b32 v8, 16, v9 bitop3:0x54
	ds_load_b32 v12, v12
	ds_load_b32 v13, v13
	s_wait_dscnt 0x0
	s_barrier_signal -1
	s_barrier_wait -1
	ds_store_b32 v2, v1
	s_wait_dscnt 0x0
	s_barrier_signal -1
	s_barrier_wait -1
	v_sub_nc_u32_e32 v14, v8, v9
	v_cmp_lt_u32_e64 s0, v13, v12
	s_or_b32 s0, vcc_lo, s0
	s_delay_alu instid0(SALU_CYCLE_1) | instskip(SKIP_4) | instid1(VALU_DEP_2)
	s_and_b32 vcc_lo, s1, s0
	s_mov_b32 s1, 0
	v_dual_cndmask_b32 v12, v12, v13, vcc_lo :: v_dual_cndmask_b32 v10, v11, v10, vcc_lo
	v_sub_nc_u32_e32 v11, v3, v8
	s_mov_b32 s0, exec_lo
	v_dual_lshlrev_b32 v1, 2, v10 :: v_dual_bitop2_b32 v10, 31, v0 bitop3:0x40
	ds_load_b32 v1, v1
	v_sub_nc_u32_e32 v13, v10, v11
	v_cmp_ge_i32_e32 vcc_lo, v10, v11
	s_wait_dscnt 0x0
	s_barrier_signal -1
	s_barrier_wait -1
	ds_store_b32 v2, v12
	v_lshlrev_b32_e32 v12, 2, v9
	v_dual_cndmask_b32 v11, 0, v13, vcc_lo :: v_dual_min_i32 v13, v10, v14
	s_wait_dscnt 0x0
	s_barrier_signal -1
	s_barrier_wait -1
	s_delay_alu instid0(VALU_DEP_1)
	v_cmpx_lt_i32_e64 v11, v13
	s_cbranch_execz .LBB19_20
; %bb.17:
	v_lshlrev_b32_e32 v14, 2, v10
	s_delay_alu instid0(VALU_DEP_1)
	v_lshl_add_u32 v14, v8, 2, v14
.LBB19_18:                              ; =>This Inner Loop Header: Depth=1
	v_sub_nc_u32_e32 v15, v13, v11
	s_delay_alu instid0(VALU_DEP_1) | instskip(NEXT) | instid1(VALU_DEP_1)
	v_lshrrev_b32_e32 v15, 1, v15
	v_add_nc_u32_e32 v15, v15, v11
	s_delay_alu instid0(VALU_DEP_1) | instskip(SKIP_1) | instid1(VALU_DEP_2)
	v_not_b32_e32 v16, v15
	v_lshl_add_u32 v17, v15, 2, v12
	v_lshl_add_u32 v16, v16, 2, v14
	ds_load_b32 v17, v17
	ds_load_b32 v16, v16
	s_wait_dscnt 0x0
	v_cmp_lt_u32_e32 vcc_lo, v16, v17
	v_dual_cndmask_b32 v13, v13, v15 :: v_dual_add_nc_u32 v18, 1, v15
	s_delay_alu instid0(VALU_DEP_1) | instskip(NEXT) | instid1(VALU_DEP_1)
	v_cndmask_b32_e32 v11, v18, v11, vcc_lo
	v_cmp_ge_i32_e32 vcc_lo, v11, v13
	s_or_b32 s1, vcc_lo, s1
	s_delay_alu instid0(SALU_CYCLE_1)
	s_and_not1_b32 exec_lo, exec_lo, s1
	s_cbranch_execnz .LBB19_18
; %bb.19:
	s_or_b32 exec_lo, exec_lo, s1
.LBB19_20:
	s_delay_alu instid0(SALU_CYCLE_1) | instskip(SKIP_2) | instid1(VALU_DEP_2)
	s_or_b32 exec_lo, exec_lo, s0
	v_add_nc_u32_e32 v10, v8, v10
	v_lshl_add_u32 v12, v11, 2, v12
	v_dual_sub_nc_u32 v10, v10, v11 :: v_dual_add_nc_u32 v11, v11, v9
	v_and_b32_e32 v9, 0xc0, v0
	s_delay_alu instid0(VALU_DEP_2) | instskip(NEXT) | instid1(VALU_DEP_3)
	v_lshlrev_b32_e32 v13, 2, v10
	v_cmp_le_i32_e32 vcc_lo, v8, v11
	v_cmp_gt_i32_e64 s1, v3, v10
	s_delay_alu instid0(VALU_DEP_4)
	v_dual_add_nc_u32 v3, 64, v9 :: v_dual_bitop2_b32 v8, 32, v9 bitop3:0x54
	ds_load_b32 v12, v12
	ds_load_b32 v13, v13
	s_wait_dscnt 0x0
	s_barrier_signal -1
	s_barrier_wait -1
	ds_store_b32 v2, v1
	s_wait_dscnt 0x0
	s_barrier_signal -1
	s_barrier_wait -1
	v_sub_nc_u32_e32 v14, v8, v9
	v_cmp_lt_u32_e64 s0, v13, v12
	s_or_b32 s0, vcc_lo, s0
	s_delay_alu instid0(SALU_CYCLE_1) | instskip(SKIP_4) | instid1(VALU_DEP_2)
	s_and_b32 vcc_lo, s1, s0
	s_mov_b32 s1, 0
	v_dual_cndmask_b32 v12, v12, v13, vcc_lo :: v_dual_cndmask_b32 v10, v11, v10, vcc_lo
	v_sub_nc_u32_e32 v11, v3, v8
	s_mov_b32 s0, exec_lo
	v_dual_lshlrev_b32 v1, 2, v10 :: v_dual_bitop2_b32 v10, 63, v0 bitop3:0x40
	ds_load_b32 v1, v1
	v_sub_nc_u32_e32 v13, v10, v11
	v_cmp_ge_i32_e32 vcc_lo, v10, v11
	s_wait_dscnt 0x0
	s_barrier_signal -1
	s_barrier_wait -1
	ds_store_b32 v2, v12
	v_lshlrev_b32_e32 v12, 2, v9
	v_dual_cndmask_b32 v11, 0, v13, vcc_lo :: v_dual_min_i32 v13, v10, v14
	s_wait_dscnt 0x0
	s_barrier_signal -1
	s_barrier_wait -1
	s_delay_alu instid0(VALU_DEP_1)
	v_cmpx_lt_i32_e64 v11, v13
	s_cbranch_execz .LBB19_24
; %bb.21:
	v_lshlrev_b32_e32 v14, 2, v10
	s_delay_alu instid0(VALU_DEP_1)
	v_lshl_add_u32 v14, v8, 2, v14
.LBB19_22:                              ; =>This Inner Loop Header: Depth=1
	v_sub_nc_u32_e32 v15, v13, v11
	s_delay_alu instid0(VALU_DEP_1) | instskip(NEXT) | instid1(VALU_DEP_1)
	v_lshrrev_b32_e32 v15, 1, v15
	v_add_nc_u32_e32 v15, v15, v11
	s_delay_alu instid0(VALU_DEP_1) | instskip(SKIP_1) | instid1(VALU_DEP_2)
	v_not_b32_e32 v16, v15
	v_lshl_add_u32 v17, v15, 2, v12
	v_lshl_add_u32 v16, v16, 2, v14
	ds_load_b32 v17, v17
	ds_load_b32 v16, v16
	s_wait_dscnt 0x0
	v_cmp_lt_u32_e32 vcc_lo, v16, v17
	v_dual_cndmask_b32 v13, v13, v15 :: v_dual_add_nc_u32 v18, 1, v15
	s_delay_alu instid0(VALU_DEP_1) | instskip(NEXT) | instid1(VALU_DEP_1)
	v_cndmask_b32_e32 v11, v18, v11, vcc_lo
	v_cmp_ge_i32_e32 vcc_lo, v11, v13
	s_or_b32 s1, vcc_lo, s1
	s_delay_alu instid0(SALU_CYCLE_1)
	s_and_not1_b32 exec_lo, exec_lo, s1
	s_cbranch_execnz .LBB19_22
; %bb.23:
	s_or_b32 exec_lo, exec_lo, s1
.LBB19_24:
	s_delay_alu instid0(SALU_CYCLE_1) | instskip(SKIP_2) | instid1(VALU_DEP_2)
	s_or_b32 exec_lo, exec_lo, s0
	v_add_nc_u32_e32 v10, v8, v10
	v_lshl_add_u32 v12, v11, 2, v12
	v_dual_sub_nc_u32 v10, v10, v11 :: v_dual_add_nc_u32 v11, v11, v9
	v_and_b32_e32 v9, 0x80, v0
	s_delay_alu instid0(VALU_DEP_2) | instskip(NEXT) | instid1(VALU_DEP_3)
	v_lshlrev_b32_e32 v13, 2, v10
	v_cmp_le_i32_e32 vcc_lo, v8, v11
	v_cmp_gt_i32_e64 s1, v3, v10
	s_delay_alu instid0(VALU_DEP_4)
	v_add_nc_u32_e32 v3, 0x80, v9
	ds_load_b32 v12, v12
	ds_load_b32 v13, v13
	s_wait_dscnt 0x0
	s_barrier_signal -1
	s_barrier_wait -1
	ds_store_b32 v2, v1
	s_wait_dscnt 0x0
	s_barrier_signal -1
	s_barrier_wait -1
	v_cmp_lt_u32_e64 s0, v13, v12
	s_or_b32 s0, vcc_lo, s0
	s_delay_alu instid0(SALU_CYCLE_1) | instskip(SKIP_4) | instid1(VALU_DEP_2)
	s_and_b32 vcc_lo, s1, s0
	s_mov_b32 s1, 0
	v_dual_cndmask_b32 v12, v12, v13, vcc_lo :: v_dual_cndmask_b32 v10, v11, v10, vcc_lo
	v_or_b32_e32 v8, 64, v9
	s_mov_b32 s0, exec_lo
	v_lshlrev_b32_e32 v1, 2, v10
	v_and_b32_e32 v10, 0x7f, v0
	s_delay_alu instid0(VALU_DEP_3)
	v_dual_sub_nc_u32 v11, v3, v8 :: v_dual_sub_nc_u32 v14, v8, v9
	ds_load_b32 v1, v1
	s_wait_dscnt 0x0
	v_sub_nc_u32_e32 v13, v10, v11
	v_cmp_ge_i32_e32 vcc_lo, v10, v11
	s_barrier_signal -1
	s_barrier_wait -1
	ds_store_b32 v2, v12
	v_lshlrev_b32_e32 v12, 2, v9
	v_dual_cndmask_b32 v11, 0, v13, vcc_lo :: v_dual_min_i32 v13, v10, v14
	s_wait_dscnt 0x0
	s_barrier_signal -1
	s_barrier_wait -1
	s_delay_alu instid0(VALU_DEP_1)
	v_cmpx_lt_i32_e64 v11, v13
	s_cbranch_execz .LBB19_28
; %bb.25:
	v_lshlrev_b32_e32 v14, 2, v10
	s_delay_alu instid0(VALU_DEP_1)
	v_lshl_add_u32 v14, v8, 2, v14
.LBB19_26:                              ; =>This Inner Loop Header: Depth=1
	v_sub_nc_u32_e32 v15, v13, v11
	s_delay_alu instid0(VALU_DEP_1) | instskip(NEXT) | instid1(VALU_DEP_1)
	v_lshrrev_b32_e32 v15, 1, v15
	v_add_nc_u32_e32 v15, v15, v11
	s_delay_alu instid0(VALU_DEP_1) | instskip(SKIP_1) | instid1(VALU_DEP_2)
	v_not_b32_e32 v16, v15
	v_lshl_add_u32 v17, v15, 2, v12
	v_lshl_add_u32 v16, v16, 2, v14
	ds_load_b32 v17, v17
	ds_load_b32 v16, v16
	s_wait_dscnt 0x0
	v_cmp_lt_u32_e32 vcc_lo, v16, v17
	v_dual_cndmask_b32 v13, v13, v15 :: v_dual_add_nc_u32 v18, 1, v15
	s_delay_alu instid0(VALU_DEP_1) | instskip(NEXT) | instid1(VALU_DEP_1)
	v_cndmask_b32_e32 v11, v18, v11, vcc_lo
	v_cmp_ge_i32_e32 vcc_lo, v11, v13
	s_or_b32 s1, vcc_lo, s1
	s_delay_alu instid0(SALU_CYCLE_1)
	s_and_not1_b32 exec_lo, exec_lo, s1
	s_cbranch_execnz .LBB19_26
; %bb.27:
	s_or_b32 exec_lo, exec_lo, s1
.LBB19_28:
	s_delay_alu instid0(SALU_CYCLE_1) | instskip(SKIP_2) | instid1(VALU_DEP_2)
	s_or_b32 exec_lo, exec_lo, s0
	v_dual_add_nc_u32 v10, v8, v10 :: v_dual_add_nc_u32 v9, v11, v9
	v_lshl_add_u32 v12, v11, 2, v12
	v_sub_nc_u32_e32 v10, v10, v11
	s_delay_alu instid0(VALU_DEP_3) | instskip(SKIP_1) | instid1(VALU_DEP_3)
	v_cmp_le_i32_e32 vcc_lo, v8, v9
	v_min_i32_e32 v8, 0x80, v0
	v_lshlrev_b32_e32 v13, 2, v10
	v_cmp_gt_i32_e64 s1, v3, v10
	ds_load_b32 v12, v12
	ds_load_b32 v13, v13
	s_wait_dscnt 0x0
	s_barrier_signal -1
	s_barrier_wait -1
	ds_store_b32 v2, v1
	s_wait_dscnt 0x0
	s_barrier_signal -1
	s_barrier_wait -1
	v_cmp_lt_u32_e64 s0, v13, v12
	s_or_b32 s0, vcc_lo, s0
	s_delay_alu instid0(SALU_CYCLE_1) | instskip(SKIP_2) | instid1(VALU_DEP_1)
	s_and_b32 vcc_lo, s1, s0
	s_mov_b32 s0, exec_lo
	v_dual_cndmask_b32 v11, v12, v13, vcc_lo :: v_dual_cndmask_b32 v3, v9, v10, vcc_lo
	v_lshlrev_b32_e32 v1, 2, v3
	v_subrev_nc_u32_e64 v3, 0x80, v0 clamp
	ds_load_b32 v1, v1
	s_wait_dscnt 0x0
	s_barrier_signal -1
	s_barrier_wait -1
	ds_store_b32 v2, v11
	s_wait_dscnt 0x0
	s_barrier_signal -1
	s_barrier_wait -1
	v_cmpx_lt_i32_e64 v3, v8
	s_cbranch_execz .LBB19_32
; %bb.29:
	v_lshl_add_u32 v9, 0x80, 2, v2
	s_mov_b32 s1, 0
.LBB19_30:                              ; =>This Inner Loop Header: Depth=1
	v_sub_nc_u32_e32 v10, v8, v3
	s_delay_alu instid0(VALU_DEP_1) | instskip(NEXT) | instid1(VALU_DEP_1)
	v_lshrrev_b32_e32 v10, 1, v10
	v_add_nc_u32_e32 v10, v10, v3
	s_delay_alu instid0(VALU_DEP_1) | instskip(SKIP_1) | instid1(VALU_DEP_2)
	v_not_b32_e32 v11, v10
	v_dual_lshlrev_b32 v12, 2, v10 :: v_dual_add_nc_u32 v13, 1, v10
	v_lshl_add_u32 v11, v11, 2, v9
	ds_load_b32 v12, v12
	ds_load_b32 v11, v11
	s_wait_dscnt 0x0
	v_cmp_lt_u32_e32 vcc_lo, v11, v12
	v_dual_cndmask_b32 v8, v8, v10 :: v_dual_cndmask_b32 v3, v13, v3
	s_delay_alu instid0(VALU_DEP_1) | instskip(SKIP_1) | instid1(SALU_CYCLE_1)
	v_cmp_ge_i32_e32 vcc_lo, v3, v8
	s_or_b32 s1, vcc_lo, s1
	s_and_not1_b32 exec_lo, exec_lo, s1
	s_cbranch_execnz .LBB19_30
; %bb.31:
	s_or_b32 exec_lo, exec_lo, s1
.LBB19_32:
	s_delay_alu instid0(SALU_CYCLE_1) | instskip(SKIP_2) | instid1(VALU_DEP_2)
	s_or_b32 exec_lo, exec_lo, s0
	v_add_nc_u32_e32 v0, 0x80, v0
	v_cmp_le_i32_e32 vcc_lo, 0x80, v3
	v_dual_lshlrev_b32 v8, 2, v3 :: v_dual_sub_nc_u32 v0, v0, v3
	s_delay_alu instid0(VALU_DEP_1)
	v_lshlrev_b32_e32 v9, 2, v0
	v_cmp_gt_i32_e64 s1, 0x100, v0
	ds_load_b32 v8, v8
	ds_load_b32 v9, v9
	s_wait_dscnt 0x0
	s_barrier_signal -1
	s_barrier_wait -1
	ds_store_b32 v2, v1
	s_wait_dscnt 0x0
	s_barrier_signal -1
	s_barrier_wait -1
	v_cmp_lt_u32_e64 s0, v9, v8
	s_or_b32 s0, vcc_lo, s0
	s_delay_alu instid0(SALU_CYCLE_1) | instskip(NEXT) | instid1(SALU_CYCLE_1)
	s_and_b32 vcc_lo, s1, s0
	v_dual_cndmask_b32 v0, v3, v0, vcc_lo :: v_dual_cndmask_b32 v8, v8, v9, vcc_lo
	s_delay_alu instid0(VALU_DEP_1)
	v_lshlrev_b32_e32 v0, 2, v0
	ds_load_b32 v0, v0
	global_store_b32 v[4:5], v8, off
	s_wait_dscnt 0x0
	global_store_b32 v[6:7], v0, off
	s_endpgm
	.section	.rodata,"a",@progbits
	.p2align	6, 0x0
	.amdhsa_kernel _Z21sort_key_value_kernelILj256ELj1EjiN10test_utils4lessEEvPT1_PT2_T3_
		.amdhsa_group_segment_fixed_size 1028
		.amdhsa_private_segment_fixed_size 0
		.amdhsa_kernarg_size 20
		.amdhsa_user_sgpr_count 2
		.amdhsa_user_sgpr_dispatch_ptr 0
		.amdhsa_user_sgpr_queue_ptr 0
		.amdhsa_user_sgpr_kernarg_segment_ptr 1
		.amdhsa_user_sgpr_dispatch_id 0
		.amdhsa_user_sgpr_kernarg_preload_length 0
		.amdhsa_user_sgpr_kernarg_preload_offset 0
		.amdhsa_user_sgpr_private_segment_size 0
		.amdhsa_wavefront_size32 1
		.amdhsa_uses_dynamic_stack 0
		.amdhsa_enable_private_segment 0
		.amdhsa_system_sgpr_workgroup_id_x 1
		.amdhsa_system_sgpr_workgroup_id_y 0
		.amdhsa_system_sgpr_workgroup_id_z 0
		.amdhsa_system_sgpr_workgroup_info 0
		.amdhsa_system_vgpr_workitem_id 0
		.amdhsa_next_free_vgpr 19
		.amdhsa_next_free_sgpr 10
		.amdhsa_named_barrier_count 0
		.amdhsa_reserve_vcc 1
		.amdhsa_float_round_mode_32 0
		.amdhsa_float_round_mode_16_64 0
		.amdhsa_float_denorm_mode_32 3
		.amdhsa_float_denorm_mode_16_64 3
		.amdhsa_fp16_overflow 0
		.amdhsa_memory_ordered 1
		.amdhsa_forward_progress 1
		.amdhsa_inst_pref_size 25
		.amdhsa_round_robin_scheduling 0
		.amdhsa_exception_fp_ieee_invalid_op 0
		.amdhsa_exception_fp_denorm_src 0
		.amdhsa_exception_fp_ieee_div_zero 0
		.amdhsa_exception_fp_ieee_overflow 0
		.amdhsa_exception_fp_ieee_underflow 0
		.amdhsa_exception_fp_ieee_inexact 0
		.amdhsa_exception_int_div_zero 0
	.end_amdhsa_kernel
	.section	.text._Z21sort_key_value_kernelILj256ELj1EjiN10test_utils4lessEEvPT1_PT2_T3_,"axG",@progbits,_Z21sort_key_value_kernelILj256ELj1EjiN10test_utils4lessEEvPT1_PT2_T3_,comdat
.Lfunc_end19:
	.size	_Z21sort_key_value_kernelILj256ELj1EjiN10test_utils4lessEEvPT1_PT2_T3_, .Lfunc_end19-_Z21sort_key_value_kernelILj256ELj1EjiN10test_utils4lessEEvPT1_PT2_T3_
                                        ; -- End function
	.set _Z21sort_key_value_kernelILj256ELj1EjiN10test_utils4lessEEvPT1_PT2_T3_.num_vgpr, 19
	.set _Z21sort_key_value_kernelILj256ELj1EjiN10test_utils4lessEEvPT1_PT2_T3_.num_agpr, 0
	.set _Z21sort_key_value_kernelILj256ELj1EjiN10test_utils4lessEEvPT1_PT2_T3_.numbered_sgpr, 10
	.set _Z21sort_key_value_kernelILj256ELj1EjiN10test_utils4lessEEvPT1_PT2_T3_.num_named_barrier, 0
	.set _Z21sort_key_value_kernelILj256ELj1EjiN10test_utils4lessEEvPT1_PT2_T3_.private_seg_size, 0
	.set _Z21sort_key_value_kernelILj256ELj1EjiN10test_utils4lessEEvPT1_PT2_T3_.uses_vcc, 1
	.set _Z21sort_key_value_kernelILj256ELj1EjiN10test_utils4lessEEvPT1_PT2_T3_.uses_flat_scratch, 0
	.set _Z21sort_key_value_kernelILj256ELj1EjiN10test_utils4lessEEvPT1_PT2_T3_.has_dyn_sized_stack, 0
	.set _Z21sort_key_value_kernelILj256ELj1EjiN10test_utils4lessEEvPT1_PT2_T3_.has_recursion, 0
	.set _Z21sort_key_value_kernelILj256ELj1EjiN10test_utils4lessEEvPT1_PT2_T3_.has_indirect_call, 0
	.section	.AMDGPU.csdata,"",@progbits
; Kernel info:
; codeLenInByte = 3168
; TotalNumSgprs: 12
; NumVgprs: 19
; ScratchSize: 0
; MemoryBound: 0
; FloatMode: 240
; IeeeMode: 1
; LDSByteSize: 1028 bytes/workgroup (compile time only)
; SGPRBlocks: 0
; VGPRBlocks: 1
; NumSGPRsForWavesPerEU: 12
; NumVGPRsForWavesPerEU: 19
; NamedBarCnt: 0
; Occupancy: 16
; WaveLimiterHint : 0
; COMPUTE_PGM_RSRC2:SCRATCH_EN: 0
; COMPUTE_PGM_RSRC2:USER_SGPR: 2
; COMPUTE_PGM_RSRC2:TRAP_HANDLER: 0
; COMPUTE_PGM_RSRC2:TGID_X_EN: 1
; COMPUTE_PGM_RSRC2:TGID_Y_EN: 0
; COMPUTE_PGM_RSRC2:TGID_Z_EN: 0
; COMPUTE_PGM_RSRC2:TIDIG_COMP_CNT: 0
	.section	.text._Z21sort_key_value_kernelILj128ELj1EiiN10test_utils4lessEEvPT1_PT2_T3_,"axG",@progbits,_Z21sort_key_value_kernelILj128ELj1EiiN10test_utils4lessEEvPT1_PT2_T3_,comdat
	.protected	_Z21sort_key_value_kernelILj128ELj1EiiN10test_utils4lessEEvPT1_PT2_T3_ ; -- Begin function _Z21sort_key_value_kernelILj128ELj1EiiN10test_utils4lessEEvPT1_PT2_T3_
	.globl	_Z21sort_key_value_kernelILj128ELj1EiiN10test_utils4lessEEvPT1_PT2_T3_
	.p2align	8
	.type	_Z21sort_key_value_kernelILj128ELj1EiiN10test_utils4lessEEvPT1_PT2_T3_,@function
_Z21sort_key_value_kernelILj128ELj1EiiN10test_utils4lessEEvPT1_PT2_T3_: ; @_Z21sort_key_value_kernelILj128ELj1EiiN10test_utils4lessEEvPT1_PT2_T3_
; %bb.0:
	s_load_b128 s[4:7], s[0:1], 0x0
	s_wait_xcnt 0x0
	s_bfe_u32 s0, ttmp6, 0x4000c
	s_and_b32 s1, ttmp6, 15
	s_add_co_i32 s0, s0, 1
	s_getreg_b32 s2, hwreg(HW_REG_IB_STS2, 6, 4)
	s_mul_i32 s0, ttmp9, s0
	s_mov_b32 s3, 0
	s_add_co_i32 s1, s1, s0
	s_cmp_eq_u32 s2, 0
	v_and_b32_e32 v9, 0x7e, v0
	s_cselect_b32 s0, ttmp9, s1
	v_dual_mov_b32 v3, 0 :: v_dual_bitop2_b32 v10, 1, v0 bitop3:0x40
	s_lshl_b32 s2, s0, 7
	s_delay_alu instid0(VALU_DEP_2) | instskip(SKIP_1) | instid1(VALU_DEP_2)
	v_or_b32_e32 v8, 1, v9
	s_lshl_b64 s[8:9], s[2:3], 2
	v_add_nc_u32_e32 v4, -1, v10
	v_cmp_lt_i32_e32 vcc_lo, 0, v10
	s_delay_alu instid0(VALU_DEP_3)
	v_dual_lshlrev_b32 v2, 2, v0 :: v_dual_sub_nc_u32 v6, v8, v9
	s_wait_kmcnt 0x0
	s_add_nc_u64 s[0:1], s[4:5], s[8:9]
	s_add_nc_u64 s[4:5], s[6:7], s[8:9]
	s_clause 0x1
	global_load_b32 v5, v0, s[0:1] scale_offset
	global_load_b32 v1, v0, s[4:5] scale_offset
	v_dual_cndmask_b32 v11, 0, v4 :: v_dual_lshlrev_b32 v12, 2, v9
	v_min_i32_e32 v4, v10, v6
	s_mov_b32 s2, exec_lo
	s_wait_loadcnt 0x0
	s_barrier_signal -1
	s_barrier_wait -1
	ds_store_b32 v2, v5
	s_wait_dscnt 0x0
	s_barrier_signal -1
	s_barrier_wait -1
	s_wait_xcnt 0x0
	v_cmpx_lt_i32_e64 v11, v4
	s_cbranch_execz .LBB20_4
; %bb.1:
	v_lshlrev_b32_e32 v5, 2, v10
	s_delay_alu instid0(VALU_DEP_1)
	v_lshl_add_u32 v5, v8, 2, v5
.LBB20_2:                               ; =>This Inner Loop Header: Depth=1
	v_sub_nc_u32_e32 v6, v4, v11
	s_delay_alu instid0(VALU_DEP_1) | instskip(NEXT) | instid1(VALU_DEP_1)
	v_lshrrev_b32_e32 v6, 1, v6
	v_add_nc_u32_e32 v6, v6, v11
	s_delay_alu instid0(VALU_DEP_1) | instskip(SKIP_1) | instid1(VALU_DEP_2)
	v_not_b32_e32 v7, v6
	v_lshl_add_u32 v13, v6, 2, v12
	v_lshl_add_u32 v7, v7, 2, v5
	ds_load_b32 v13, v13
	ds_load_b32 v7, v7
	s_wait_dscnt 0x0
	v_cmp_lt_i32_e32 vcc_lo, v7, v13
	v_dual_add_nc_u32 v14, 1, v6 :: v_dual_cndmask_b32 v4, v4, v6, vcc_lo
	s_delay_alu instid0(VALU_DEP_1) | instskip(NEXT) | instid1(VALU_DEP_1)
	v_cndmask_b32_e32 v11, v14, v11, vcc_lo
	v_cmp_ge_i32_e32 vcc_lo, v11, v4
	s_or_b32 s3, vcc_lo, s3
	s_delay_alu instid0(SALU_CYCLE_1)
	s_and_not1_b32 exec_lo, exec_lo, s3
	s_cbranch_execnz .LBB20_2
; %bb.3:
	s_or_b32 exec_lo, exec_lo, s3
.LBB20_4:
	s_delay_alu instid0(SALU_CYCLE_1) | instskip(SKIP_4) | instid1(VALU_DEP_2)
	s_or_b32 exec_lo, exec_lo, s2
	v_add_nc_u64_e32 v[4:5], s[0:1], v[2:3]
	v_add_nc_u64_e32 v[6:7], s[4:5], v[2:3]
	v_add_nc_u32_e32 v3, v8, v10
	v_lshl_add_u32 v10, v11, 2, v12
	v_sub_nc_u32_e32 v3, v3, v11
	v_add_nc_u32_e32 v11, v11, v9
	v_and_b32_e32 v9, 0x7c, v0
	s_delay_alu instid0(VALU_DEP_3) | instskip(NEXT) | instid1(VALU_DEP_3)
	v_lshlrev_b32_e32 v12, 2, v3
	v_cmp_le_i32_e32 vcc_lo, v8, v11
	ds_load_b32 v10, v10
	ds_load_b32 v12, v12
	v_cmp_ge_i32_e64 s1, v8, v3
	s_wait_dscnt 0x0
	s_barrier_signal -1
	s_barrier_wait -1
	ds_store_b32 v2, v1
	s_wait_dscnt 0x0
	s_barrier_signal -1
	v_or_b32_e32 v8, 2, v9
	s_barrier_wait -1
	v_cmp_lt_i32_e64 s0, v12, v10
	s_or_b32 s0, vcc_lo, s0
	s_delay_alu instid0(SALU_CYCLE_1) | instskip(SKIP_4) | instid1(VALU_DEP_2)
	s_and_b32 vcc_lo, s1, s0
	s_mov_b32 s1, 0
	v_dual_cndmask_b32 v12, v10, v12, vcc_lo :: v_dual_cndmask_b32 v10, v11, v3, vcc_lo
	v_dual_add_nc_u32 v3, 4, v9 :: v_dual_sub_nc_u32 v14, v8, v9
	s_mov_b32 s0, exec_lo
	v_dual_lshlrev_b32 v1, 2, v10 :: v_dual_bitop2_b32 v10, 3, v0 bitop3:0x40
	s_delay_alu instid0(VALU_DEP_2)
	v_sub_nc_u32_e32 v11, v3, v8
	ds_load_b32 v1, v1
	s_wait_dscnt 0x0
	v_sub_nc_u32_e32 v13, v10, v11
	v_cmp_ge_i32_e32 vcc_lo, v10, v11
	s_barrier_signal -1
	s_barrier_wait -1
	ds_store_b32 v2, v12
	v_lshlrev_b32_e32 v12, 2, v9
	v_dual_cndmask_b32 v11, 0, v13, vcc_lo :: v_dual_min_i32 v13, v10, v14
	s_wait_dscnt 0x0
	s_barrier_signal -1
	s_barrier_wait -1
	s_delay_alu instid0(VALU_DEP_1)
	v_cmpx_lt_i32_e64 v11, v13
	s_cbranch_execz .LBB20_8
; %bb.5:
	v_lshlrev_b32_e32 v14, 2, v10
	s_delay_alu instid0(VALU_DEP_1)
	v_lshl_add_u32 v14, v8, 2, v14
.LBB20_6:                               ; =>This Inner Loop Header: Depth=1
	v_sub_nc_u32_e32 v15, v13, v11
	s_delay_alu instid0(VALU_DEP_1) | instskip(NEXT) | instid1(VALU_DEP_1)
	v_lshrrev_b32_e32 v15, 1, v15
	v_add_nc_u32_e32 v15, v15, v11
	s_delay_alu instid0(VALU_DEP_1) | instskip(SKIP_1) | instid1(VALU_DEP_2)
	v_not_b32_e32 v16, v15
	v_lshl_add_u32 v17, v15, 2, v12
	v_lshl_add_u32 v16, v16, 2, v14
	ds_load_b32 v17, v17
	ds_load_b32 v16, v16
	s_wait_dscnt 0x0
	v_cmp_lt_i32_e32 vcc_lo, v16, v17
	v_dual_cndmask_b32 v13, v13, v15 :: v_dual_add_nc_u32 v18, 1, v15
	s_delay_alu instid0(VALU_DEP_1) | instskip(NEXT) | instid1(VALU_DEP_1)
	v_cndmask_b32_e32 v11, v18, v11, vcc_lo
	v_cmp_ge_i32_e32 vcc_lo, v11, v13
	s_or_b32 s1, vcc_lo, s1
	s_delay_alu instid0(SALU_CYCLE_1)
	s_and_not1_b32 exec_lo, exec_lo, s1
	s_cbranch_execnz .LBB20_6
; %bb.7:
	s_or_b32 exec_lo, exec_lo, s1
.LBB20_8:
	s_delay_alu instid0(SALU_CYCLE_1) | instskip(SKIP_2) | instid1(VALU_DEP_2)
	s_or_b32 exec_lo, exec_lo, s0
	v_add_nc_u32_e32 v10, v8, v10
	v_lshl_add_u32 v12, v11, 2, v12
	v_dual_sub_nc_u32 v10, v10, v11 :: v_dual_add_nc_u32 v11, v11, v9
	v_and_b32_e32 v9, 0x78, v0
	s_delay_alu instid0(VALU_DEP_2) | instskip(NEXT) | instid1(VALU_DEP_3)
	v_lshlrev_b32_e32 v13, 2, v10
	v_cmp_le_i32_e32 vcc_lo, v8, v11
	v_cmp_gt_i32_e64 s1, v3, v10
	s_delay_alu instid0(VALU_DEP_4)
	v_dual_add_nc_u32 v3, 8, v9 :: v_dual_bitop2_b32 v8, 4, v9 bitop3:0x54
	ds_load_b32 v12, v12
	ds_load_b32 v13, v13
	s_wait_dscnt 0x0
	s_barrier_signal -1
	s_barrier_wait -1
	ds_store_b32 v2, v1
	s_wait_dscnt 0x0
	s_barrier_signal -1
	s_barrier_wait -1
	v_sub_nc_u32_e32 v14, v8, v9
	v_cmp_lt_i32_e64 s0, v13, v12
	s_or_b32 s0, vcc_lo, s0
	s_delay_alu instid0(SALU_CYCLE_1) | instskip(SKIP_4) | instid1(VALU_DEP_2)
	s_and_b32 vcc_lo, s1, s0
	s_mov_b32 s1, 0
	v_dual_cndmask_b32 v12, v12, v13, vcc_lo :: v_dual_cndmask_b32 v10, v11, v10, vcc_lo
	v_sub_nc_u32_e32 v11, v3, v8
	s_mov_b32 s0, exec_lo
	v_dual_lshlrev_b32 v1, 2, v10 :: v_dual_bitop2_b32 v10, 7, v0 bitop3:0x40
	ds_load_b32 v1, v1
	v_sub_nc_u32_e32 v13, v10, v11
	v_cmp_ge_i32_e32 vcc_lo, v10, v11
	s_wait_dscnt 0x0
	s_barrier_signal -1
	s_barrier_wait -1
	ds_store_b32 v2, v12
	v_lshlrev_b32_e32 v12, 2, v9
	v_dual_cndmask_b32 v11, 0, v13, vcc_lo :: v_dual_min_i32 v13, v10, v14
	s_wait_dscnt 0x0
	s_barrier_signal -1
	s_barrier_wait -1
	s_delay_alu instid0(VALU_DEP_1)
	v_cmpx_lt_i32_e64 v11, v13
	s_cbranch_execz .LBB20_12
; %bb.9:
	v_lshlrev_b32_e32 v14, 2, v10
	s_delay_alu instid0(VALU_DEP_1)
	v_lshl_add_u32 v14, v8, 2, v14
.LBB20_10:                              ; =>This Inner Loop Header: Depth=1
	v_sub_nc_u32_e32 v15, v13, v11
	s_delay_alu instid0(VALU_DEP_1) | instskip(NEXT) | instid1(VALU_DEP_1)
	v_lshrrev_b32_e32 v15, 1, v15
	v_add_nc_u32_e32 v15, v15, v11
	s_delay_alu instid0(VALU_DEP_1) | instskip(SKIP_1) | instid1(VALU_DEP_2)
	v_not_b32_e32 v16, v15
	v_lshl_add_u32 v17, v15, 2, v12
	v_lshl_add_u32 v16, v16, 2, v14
	ds_load_b32 v17, v17
	ds_load_b32 v16, v16
	s_wait_dscnt 0x0
	v_cmp_lt_i32_e32 vcc_lo, v16, v17
	v_dual_cndmask_b32 v13, v13, v15 :: v_dual_add_nc_u32 v18, 1, v15
	s_delay_alu instid0(VALU_DEP_1) | instskip(NEXT) | instid1(VALU_DEP_1)
	v_cndmask_b32_e32 v11, v18, v11, vcc_lo
	v_cmp_ge_i32_e32 vcc_lo, v11, v13
	s_or_b32 s1, vcc_lo, s1
	s_delay_alu instid0(SALU_CYCLE_1)
	s_and_not1_b32 exec_lo, exec_lo, s1
	s_cbranch_execnz .LBB20_10
; %bb.11:
	s_or_b32 exec_lo, exec_lo, s1
.LBB20_12:
	s_delay_alu instid0(SALU_CYCLE_1) | instskip(SKIP_2) | instid1(VALU_DEP_2)
	s_or_b32 exec_lo, exec_lo, s0
	v_add_nc_u32_e32 v10, v8, v10
	v_lshl_add_u32 v12, v11, 2, v12
	v_dual_sub_nc_u32 v10, v10, v11 :: v_dual_add_nc_u32 v11, v11, v9
	v_and_b32_e32 v9, 0x70, v0
	s_delay_alu instid0(VALU_DEP_2) | instskip(NEXT) | instid1(VALU_DEP_3)
	v_lshlrev_b32_e32 v13, 2, v10
	v_cmp_le_i32_e32 vcc_lo, v8, v11
	v_cmp_gt_i32_e64 s1, v3, v10
	s_delay_alu instid0(VALU_DEP_4)
	v_dual_add_nc_u32 v3, 16, v9 :: v_dual_bitop2_b32 v8, 8, v9 bitop3:0x54
	ds_load_b32 v12, v12
	ds_load_b32 v13, v13
	s_wait_dscnt 0x0
	s_barrier_signal -1
	s_barrier_wait -1
	ds_store_b32 v2, v1
	s_wait_dscnt 0x0
	s_barrier_signal -1
	s_barrier_wait -1
	v_sub_nc_u32_e32 v14, v8, v9
	v_cmp_lt_i32_e64 s0, v13, v12
	s_or_b32 s0, vcc_lo, s0
	s_delay_alu instid0(SALU_CYCLE_1) | instskip(SKIP_4) | instid1(VALU_DEP_2)
	s_and_b32 vcc_lo, s1, s0
	s_mov_b32 s1, 0
	v_dual_cndmask_b32 v12, v12, v13, vcc_lo :: v_dual_cndmask_b32 v10, v11, v10, vcc_lo
	v_sub_nc_u32_e32 v11, v3, v8
	s_mov_b32 s0, exec_lo
	v_dual_lshlrev_b32 v1, 2, v10 :: v_dual_bitop2_b32 v10, 15, v0 bitop3:0x40
	ds_load_b32 v1, v1
	v_sub_nc_u32_e32 v13, v10, v11
	v_cmp_ge_i32_e32 vcc_lo, v10, v11
	s_wait_dscnt 0x0
	s_barrier_signal -1
	s_barrier_wait -1
	ds_store_b32 v2, v12
	v_lshlrev_b32_e32 v12, 2, v9
	v_dual_cndmask_b32 v11, 0, v13, vcc_lo :: v_dual_min_i32 v13, v10, v14
	s_wait_dscnt 0x0
	s_barrier_signal -1
	s_barrier_wait -1
	s_delay_alu instid0(VALU_DEP_1)
	v_cmpx_lt_i32_e64 v11, v13
	s_cbranch_execz .LBB20_16
; %bb.13:
	v_lshlrev_b32_e32 v14, 2, v10
	s_delay_alu instid0(VALU_DEP_1)
	v_lshl_add_u32 v14, v8, 2, v14
.LBB20_14:                              ; =>This Inner Loop Header: Depth=1
	v_sub_nc_u32_e32 v15, v13, v11
	s_delay_alu instid0(VALU_DEP_1) | instskip(NEXT) | instid1(VALU_DEP_1)
	v_lshrrev_b32_e32 v15, 1, v15
	v_add_nc_u32_e32 v15, v15, v11
	s_delay_alu instid0(VALU_DEP_1) | instskip(SKIP_1) | instid1(VALU_DEP_2)
	v_not_b32_e32 v16, v15
	v_lshl_add_u32 v17, v15, 2, v12
	v_lshl_add_u32 v16, v16, 2, v14
	ds_load_b32 v17, v17
	ds_load_b32 v16, v16
	s_wait_dscnt 0x0
	v_cmp_lt_i32_e32 vcc_lo, v16, v17
	v_dual_cndmask_b32 v13, v13, v15 :: v_dual_add_nc_u32 v18, 1, v15
	s_delay_alu instid0(VALU_DEP_1) | instskip(NEXT) | instid1(VALU_DEP_1)
	v_cndmask_b32_e32 v11, v18, v11, vcc_lo
	v_cmp_ge_i32_e32 vcc_lo, v11, v13
	s_or_b32 s1, vcc_lo, s1
	s_delay_alu instid0(SALU_CYCLE_1)
	s_and_not1_b32 exec_lo, exec_lo, s1
	s_cbranch_execnz .LBB20_14
; %bb.15:
	s_or_b32 exec_lo, exec_lo, s1
.LBB20_16:
	s_delay_alu instid0(SALU_CYCLE_1) | instskip(SKIP_2) | instid1(VALU_DEP_2)
	s_or_b32 exec_lo, exec_lo, s0
	v_add_nc_u32_e32 v10, v8, v10
	v_lshl_add_u32 v12, v11, 2, v12
	v_dual_sub_nc_u32 v10, v10, v11 :: v_dual_add_nc_u32 v11, v11, v9
	v_and_b32_e32 v9, 0x60, v0
	s_delay_alu instid0(VALU_DEP_2) | instskip(NEXT) | instid1(VALU_DEP_3)
	v_lshlrev_b32_e32 v13, 2, v10
	v_cmp_le_i32_e32 vcc_lo, v8, v11
	v_cmp_gt_i32_e64 s1, v3, v10
	s_delay_alu instid0(VALU_DEP_4)
	v_dual_add_nc_u32 v3, 32, v9 :: v_dual_bitop2_b32 v8, 16, v9 bitop3:0x54
	ds_load_b32 v12, v12
	ds_load_b32 v13, v13
	s_wait_dscnt 0x0
	s_barrier_signal -1
	s_barrier_wait -1
	ds_store_b32 v2, v1
	s_wait_dscnt 0x0
	s_barrier_signal -1
	s_barrier_wait -1
	v_sub_nc_u32_e32 v14, v8, v9
	v_cmp_lt_i32_e64 s0, v13, v12
	s_or_b32 s0, vcc_lo, s0
	s_delay_alu instid0(SALU_CYCLE_1) | instskip(SKIP_4) | instid1(VALU_DEP_2)
	s_and_b32 vcc_lo, s1, s0
	s_mov_b32 s1, 0
	v_dual_cndmask_b32 v12, v12, v13, vcc_lo :: v_dual_cndmask_b32 v10, v11, v10, vcc_lo
	v_sub_nc_u32_e32 v11, v3, v8
	s_mov_b32 s0, exec_lo
	v_dual_lshlrev_b32 v1, 2, v10 :: v_dual_bitop2_b32 v10, 31, v0 bitop3:0x40
	ds_load_b32 v1, v1
	v_sub_nc_u32_e32 v13, v10, v11
	v_cmp_ge_i32_e32 vcc_lo, v10, v11
	s_wait_dscnt 0x0
	s_barrier_signal -1
	s_barrier_wait -1
	ds_store_b32 v2, v12
	v_lshlrev_b32_e32 v12, 2, v9
	v_dual_cndmask_b32 v11, 0, v13, vcc_lo :: v_dual_min_i32 v13, v10, v14
	s_wait_dscnt 0x0
	s_barrier_signal -1
	s_barrier_wait -1
	s_delay_alu instid0(VALU_DEP_1)
	v_cmpx_lt_i32_e64 v11, v13
	s_cbranch_execz .LBB20_20
; %bb.17:
	v_lshlrev_b32_e32 v14, 2, v10
	s_delay_alu instid0(VALU_DEP_1)
	v_lshl_add_u32 v14, v8, 2, v14
.LBB20_18:                              ; =>This Inner Loop Header: Depth=1
	v_sub_nc_u32_e32 v15, v13, v11
	s_delay_alu instid0(VALU_DEP_1) | instskip(NEXT) | instid1(VALU_DEP_1)
	v_lshrrev_b32_e32 v15, 1, v15
	v_add_nc_u32_e32 v15, v15, v11
	s_delay_alu instid0(VALU_DEP_1) | instskip(SKIP_1) | instid1(VALU_DEP_2)
	v_not_b32_e32 v16, v15
	v_lshl_add_u32 v17, v15, 2, v12
	v_lshl_add_u32 v16, v16, 2, v14
	ds_load_b32 v17, v17
	ds_load_b32 v16, v16
	s_wait_dscnt 0x0
	v_cmp_lt_i32_e32 vcc_lo, v16, v17
	v_dual_cndmask_b32 v13, v13, v15 :: v_dual_add_nc_u32 v18, 1, v15
	s_delay_alu instid0(VALU_DEP_1) | instskip(NEXT) | instid1(VALU_DEP_1)
	v_cndmask_b32_e32 v11, v18, v11, vcc_lo
	v_cmp_ge_i32_e32 vcc_lo, v11, v13
	s_or_b32 s1, vcc_lo, s1
	s_delay_alu instid0(SALU_CYCLE_1)
	s_and_not1_b32 exec_lo, exec_lo, s1
	s_cbranch_execnz .LBB20_18
; %bb.19:
	s_or_b32 exec_lo, exec_lo, s1
.LBB20_20:
	s_delay_alu instid0(SALU_CYCLE_1) | instskip(SKIP_2) | instid1(VALU_DEP_2)
	s_or_b32 exec_lo, exec_lo, s0
	v_add_nc_u32_e32 v10, v8, v10
	v_lshl_add_u32 v12, v11, 2, v12
	v_dual_sub_nc_u32 v10, v10, v11 :: v_dual_add_nc_u32 v11, v11, v9
	s_delay_alu instid0(VALU_DEP_1) | instskip(NEXT) | instid1(VALU_DEP_2)
	v_dual_lshlrev_b32 v13, 2, v10 :: v_dual_bitop2_b32 v9, 64, v0 bitop3:0x40
	v_cmp_le_i32_e32 vcc_lo, v8, v11
	v_cmp_gt_i32_e64 s1, v3, v10
	s_delay_alu instid0(VALU_DEP_3)
	v_dual_add_nc_u32 v3, 64, v9 :: v_dual_bitop2_b32 v8, 32, v9 bitop3:0x54
	ds_load_b32 v12, v12
	ds_load_b32 v13, v13
	s_wait_dscnt 0x0
	s_barrier_signal -1
	s_barrier_wait -1
	ds_store_b32 v2, v1
	s_wait_dscnt 0x0
	s_barrier_signal -1
	s_barrier_wait -1
	v_sub_nc_u32_e32 v14, v8, v9
	v_cmp_lt_i32_e64 s0, v13, v12
	s_or_b32 s0, vcc_lo, s0
	s_delay_alu instid0(SALU_CYCLE_1) | instskip(SKIP_3) | instid1(VALU_DEP_1)
	s_and_b32 vcc_lo, s1, s0
	s_mov_b32 s1, 0
	v_dual_cndmask_b32 v10, v11, v10, vcc_lo :: v_dual_cndmask_b32 v12, v12, v13, vcc_lo
	s_mov_b32 s0, exec_lo
	v_dual_lshlrev_b32 v1, 2, v10 :: v_dual_bitop2_b32 v10, 63, v0 bitop3:0x40
	v_sub_nc_u32_e32 v11, v3, v8
	ds_load_b32 v1, v1
	s_wait_dscnt 0x0
	v_sub_nc_u32_e32 v13, v10, v11
	v_cmp_ge_i32_e32 vcc_lo, v10, v11
	s_barrier_signal -1
	s_barrier_wait -1
	ds_store_b32 v2, v12
	v_lshlrev_b32_e32 v12, 2, v9
	v_dual_cndmask_b32 v11, 0, v13, vcc_lo :: v_dual_min_i32 v13, v10, v14
	s_wait_dscnt 0x0
	s_barrier_signal -1
	s_barrier_wait -1
	s_delay_alu instid0(VALU_DEP_1)
	v_cmpx_lt_i32_e64 v11, v13
	s_cbranch_execz .LBB20_24
; %bb.21:
	v_lshlrev_b32_e32 v14, 2, v10
	s_delay_alu instid0(VALU_DEP_1)
	v_lshl_add_u32 v14, v8, 2, v14
.LBB20_22:                              ; =>This Inner Loop Header: Depth=1
	v_sub_nc_u32_e32 v15, v13, v11
	s_delay_alu instid0(VALU_DEP_1) | instskip(NEXT) | instid1(VALU_DEP_1)
	v_lshrrev_b32_e32 v15, 1, v15
	v_add_nc_u32_e32 v15, v15, v11
	s_delay_alu instid0(VALU_DEP_1) | instskip(SKIP_1) | instid1(VALU_DEP_2)
	v_not_b32_e32 v16, v15
	v_lshl_add_u32 v17, v15, 2, v12
	v_lshl_add_u32 v16, v16, 2, v14
	ds_load_b32 v17, v17
	ds_load_b32 v16, v16
	s_wait_dscnt 0x0
	v_cmp_lt_i32_e32 vcc_lo, v16, v17
	v_dual_cndmask_b32 v13, v13, v15 :: v_dual_add_nc_u32 v18, 1, v15
	s_delay_alu instid0(VALU_DEP_1) | instskip(NEXT) | instid1(VALU_DEP_1)
	v_cndmask_b32_e32 v11, v18, v11, vcc_lo
	v_cmp_ge_i32_e32 vcc_lo, v11, v13
	s_or_b32 s1, vcc_lo, s1
	s_delay_alu instid0(SALU_CYCLE_1)
	s_and_not1_b32 exec_lo, exec_lo, s1
	s_cbranch_execnz .LBB20_22
; %bb.23:
	s_or_b32 exec_lo, exec_lo, s1
.LBB20_24:
	s_delay_alu instid0(SALU_CYCLE_1) | instskip(SKIP_2) | instid1(VALU_DEP_2)
	s_or_b32 exec_lo, exec_lo, s0
	v_dual_add_nc_u32 v10, v8, v10 :: v_dual_add_nc_u32 v9, v11, v9
	v_lshl_add_u32 v12, v11, 2, v12
	v_sub_nc_u32_e32 v10, v10, v11
	s_delay_alu instid0(VALU_DEP_3) | instskip(NEXT) | instid1(VALU_DEP_2)
	v_cmp_le_i32_e32 vcc_lo, v8, v9
	v_dual_lshlrev_b32 v13, 2, v10 :: v_dual_min_i32 v8, 64, v0
	ds_load_b32 v12, v12
	ds_load_b32 v13, v13
	v_cmp_gt_i32_e64 s1, v3, v10
	s_wait_dscnt 0x0
	s_barrier_signal -1
	s_barrier_wait -1
	ds_store_b32 v2, v1
	s_wait_dscnt 0x0
	s_barrier_signal -1
	s_barrier_wait -1
	v_cmp_lt_i32_e64 s0, v13, v12
	s_or_b32 s0, vcc_lo, s0
	s_delay_alu instid0(SALU_CYCLE_1) | instskip(SKIP_2) | instid1(VALU_DEP_1)
	s_and_b32 vcc_lo, s1, s0
	s_mov_b32 s0, exec_lo
	v_dual_cndmask_b32 v11, v12, v13, vcc_lo :: v_dual_cndmask_b32 v3, v9, v10, vcc_lo
	v_lshlrev_b32_e32 v1, 2, v3
	v_sub_nc_u32_e64 v3, v0, 64 clamp
	ds_load_b32 v1, v1
	s_wait_dscnt 0x0
	s_barrier_signal -1
	s_barrier_wait -1
	ds_store_b32 v2, v11
	s_wait_dscnt 0x0
	s_barrier_signal -1
	s_barrier_wait -1
	v_cmpx_lt_i32_e64 v3, v8
	s_cbranch_execz .LBB20_28
; %bb.25:
	v_lshl_add_u32 v9, 64, 2, v2
	s_mov_b32 s1, 0
.LBB20_26:                              ; =>This Inner Loop Header: Depth=1
	v_sub_nc_u32_e32 v10, v8, v3
	s_delay_alu instid0(VALU_DEP_1) | instskip(NEXT) | instid1(VALU_DEP_1)
	v_lshrrev_b32_e32 v10, 1, v10
	v_add_nc_u32_e32 v10, v10, v3
	s_delay_alu instid0(VALU_DEP_1) | instskip(SKIP_1) | instid1(VALU_DEP_2)
	v_not_b32_e32 v11, v10
	v_dual_lshlrev_b32 v12, 2, v10 :: v_dual_add_nc_u32 v13, 1, v10
	v_lshl_add_u32 v11, v11, 2, v9
	ds_load_b32 v12, v12
	ds_load_b32 v11, v11
	s_wait_dscnt 0x0
	v_cmp_lt_i32_e32 vcc_lo, v11, v12
	v_dual_cndmask_b32 v8, v8, v10 :: v_dual_cndmask_b32 v3, v13, v3
	s_delay_alu instid0(VALU_DEP_1) | instskip(SKIP_1) | instid1(SALU_CYCLE_1)
	v_cmp_ge_i32_e32 vcc_lo, v3, v8
	s_or_b32 s1, vcc_lo, s1
	s_and_not1_b32 exec_lo, exec_lo, s1
	s_cbranch_execnz .LBB20_26
; %bb.27:
	s_or_b32 exec_lo, exec_lo, s1
.LBB20_28:
	s_delay_alu instid0(SALU_CYCLE_1) | instskip(SKIP_2) | instid1(VALU_DEP_2)
	s_or_b32 exec_lo, exec_lo, s0
	v_dual_add_nc_u32 v0, 64, v0 :: v_dual_lshlrev_b32 v8, 2, v3
	v_cmp_le_i32_e32 vcc_lo, 64, v3
	v_sub_nc_u32_e32 v0, v0, v3
	s_delay_alu instid0(VALU_DEP_1)
	v_lshlrev_b32_e32 v9, 2, v0
	v_cmp_gt_i32_e64 s1, 0x80, v0
	ds_load_b32 v8, v8
	ds_load_b32 v9, v9
	s_wait_dscnt 0x0
	s_barrier_signal -1
	s_barrier_wait -1
	ds_store_b32 v2, v1
	s_wait_dscnt 0x0
	s_barrier_signal -1
	s_barrier_wait -1
	v_cmp_lt_i32_e64 s0, v9, v8
	s_or_b32 s0, vcc_lo, s0
	s_delay_alu instid0(SALU_CYCLE_1) | instskip(NEXT) | instid1(SALU_CYCLE_1)
	s_and_b32 vcc_lo, s1, s0
	v_dual_cndmask_b32 v0, v3, v0, vcc_lo :: v_dual_cndmask_b32 v8, v8, v9, vcc_lo
	s_delay_alu instid0(VALU_DEP_1)
	v_lshlrev_b32_e32 v0, 2, v0
	ds_load_b32 v0, v0
	global_store_b32 v[4:5], v8, off
	s_wait_dscnt 0x0
	global_store_b32 v[6:7], v0, off
	s_endpgm
	.section	.rodata,"a",@progbits
	.p2align	6, 0x0
	.amdhsa_kernel _Z21sort_key_value_kernelILj128ELj1EiiN10test_utils4lessEEvPT1_PT2_T3_
		.amdhsa_group_segment_fixed_size 516
		.amdhsa_private_segment_fixed_size 0
		.amdhsa_kernarg_size 20
		.amdhsa_user_sgpr_count 2
		.amdhsa_user_sgpr_dispatch_ptr 0
		.amdhsa_user_sgpr_queue_ptr 0
		.amdhsa_user_sgpr_kernarg_segment_ptr 1
		.amdhsa_user_sgpr_dispatch_id 0
		.amdhsa_user_sgpr_kernarg_preload_length 0
		.amdhsa_user_sgpr_kernarg_preload_offset 0
		.amdhsa_user_sgpr_private_segment_size 0
		.amdhsa_wavefront_size32 1
		.amdhsa_uses_dynamic_stack 0
		.amdhsa_enable_private_segment 0
		.amdhsa_system_sgpr_workgroup_id_x 1
		.amdhsa_system_sgpr_workgroup_id_y 0
		.amdhsa_system_sgpr_workgroup_id_z 0
		.amdhsa_system_sgpr_workgroup_info 0
		.amdhsa_system_vgpr_workitem_id 0
		.amdhsa_next_free_vgpr 19
		.amdhsa_next_free_sgpr 10
		.amdhsa_named_barrier_count 0
		.amdhsa_reserve_vcc 1
		.amdhsa_float_round_mode_32 0
		.amdhsa_float_round_mode_16_64 0
		.amdhsa_float_denorm_mode_32 3
		.amdhsa_float_denorm_mode_16_64 3
		.amdhsa_fp16_overflow 0
		.amdhsa_memory_ordered 1
		.amdhsa_forward_progress 1
		.amdhsa_inst_pref_size 22
		.amdhsa_round_robin_scheduling 0
		.amdhsa_exception_fp_ieee_invalid_op 0
		.amdhsa_exception_fp_denorm_src 0
		.amdhsa_exception_fp_ieee_div_zero 0
		.amdhsa_exception_fp_ieee_overflow 0
		.amdhsa_exception_fp_ieee_underflow 0
		.amdhsa_exception_fp_ieee_inexact 0
		.amdhsa_exception_int_div_zero 0
	.end_amdhsa_kernel
	.section	.text._Z21sort_key_value_kernelILj128ELj1EiiN10test_utils4lessEEvPT1_PT2_T3_,"axG",@progbits,_Z21sort_key_value_kernelILj128ELj1EiiN10test_utils4lessEEvPT1_PT2_T3_,comdat
.Lfunc_end20:
	.size	_Z21sort_key_value_kernelILj128ELj1EiiN10test_utils4lessEEvPT1_PT2_T3_, .Lfunc_end20-_Z21sort_key_value_kernelILj128ELj1EiiN10test_utils4lessEEvPT1_PT2_T3_
                                        ; -- End function
	.set _Z21sort_key_value_kernelILj128ELj1EiiN10test_utils4lessEEvPT1_PT2_T3_.num_vgpr, 19
	.set _Z21sort_key_value_kernelILj128ELj1EiiN10test_utils4lessEEvPT1_PT2_T3_.num_agpr, 0
	.set _Z21sort_key_value_kernelILj128ELj1EiiN10test_utils4lessEEvPT1_PT2_T3_.numbered_sgpr, 10
	.set _Z21sort_key_value_kernelILj128ELj1EiiN10test_utils4lessEEvPT1_PT2_T3_.num_named_barrier, 0
	.set _Z21sort_key_value_kernelILj128ELj1EiiN10test_utils4lessEEvPT1_PT2_T3_.private_seg_size, 0
	.set _Z21sort_key_value_kernelILj128ELj1EiiN10test_utils4lessEEvPT1_PT2_T3_.uses_vcc, 1
	.set _Z21sort_key_value_kernelILj128ELj1EiiN10test_utils4lessEEvPT1_PT2_T3_.uses_flat_scratch, 0
	.set _Z21sort_key_value_kernelILj128ELj1EiiN10test_utils4lessEEvPT1_PT2_T3_.has_dyn_sized_stack, 0
	.set _Z21sort_key_value_kernelILj128ELj1EiiN10test_utils4lessEEvPT1_PT2_T3_.has_recursion, 0
	.set _Z21sort_key_value_kernelILj128ELj1EiiN10test_utils4lessEEvPT1_PT2_T3_.has_indirect_call, 0
	.section	.AMDGPU.csdata,"",@progbits
; Kernel info:
; codeLenInByte = 2760
; TotalNumSgprs: 12
; NumVgprs: 19
; ScratchSize: 0
; MemoryBound: 0
; FloatMode: 240
; IeeeMode: 1
; LDSByteSize: 516 bytes/workgroup (compile time only)
; SGPRBlocks: 0
; VGPRBlocks: 1
; NumSGPRsForWavesPerEU: 12
; NumVGPRsForWavesPerEU: 19
; NamedBarCnt: 0
; Occupancy: 16
; WaveLimiterHint : 0
; COMPUTE_PGM_RSRC2:SCRATCH_EN: 0
; COMPUTE_PGM_RSRC2:USER_SGPR: 2
; COMPUTE_PGM_RSRC2:TRAP_HANDLER: 0
; COMPUTE_PGM_RSRC2:TGID_X_EN: 1
; COMPUTE_PGM_RSRC2:TGID_Y_EN: 0
; COMPUTE_PGM_RSRC2:TGID_Z_EN: 0
; COMPUTE_PGM_RSRC2:TIDIG_COMP_CNT: 0
	.section	.text._Z21sort_key_value_kernelILj64ELj1EjiN10test_utils4lessEEvPT1_PT2_T3_,"axG",@progbits,_Z21sort_key_value_kernelILj64ELj1EjiN10test_utils4lessEEvPT1_PT2_T3_,comdat
	.protected	_Z21sort_key_value_kernelILj64ELj1EjiN10test_utils4lessEEvPT1_PT2_T3_ ; -- Begin function _Z21sort_key_value_kernelILj64ELj1EjiN10test_utils4lessEEvPT1_PT2_T3_
	.globl	_Z21sort_key_value_kernelILj64ELj1EjiN10test_utils4lessEEvPT1_PT2_T3_
	.p2align	8
	.type	_Z21sort_key_value_kernelILj64ELj1EjiN10test_utils4lessEEvPT1_PT2_T3_,@function
_Z21sort_key_value_kernelILj64ELj1EjiN10test_utils4lessEEvPT1_PT2_T3_: ; @_Z21sort_key_value_kernelILj64ELj1EjiN10test_utils4lessEEvPT1_PT2_T3_
; %bb.0:
	s_load_b128 s[4:7], s[0:1], 0x0
	s_wait_xcnt 0x0
	s_bfe_u32 s0, ttmp6, 0x4000c
	s_and_b32 s1, ttmp6, 15
	s_add_co_i32 s0, s0, 1
	s_getreg_b32 s2, hwreg(HW_REG_IB_STS2, 6, 4)
	s_mul_i32 s0, ttmp9, s0
	s_mov_b32 s3, 0
	s_add_co_i32 s1, s1, s0
	s_cmp_eq_u32 s2, 0
	v_dual_mov_b32 v3, 0 :: v_dual_bitop2_b32 v9, 62, v0 bitop3:0x40
	s_cselect_b32 s0, ttmp9, s1
	v_lshlrev_b32_e32 v2, 2, v0
	s_lshl_b32 s2, s0, 6
	s_delay_alu instid0(VALU_DEP_2) | instskip(SKIP_3) | instid1(VALU_DEP_2)
	v_or_b32_e32 v8, 1, v9
	s_lshl_b64 s[8:9], s[2:3], 2
	v_dual_lshlrev_b32 v12, 2, v9 :: v_dual_bitop2_b32 v10, 1, v0 bitop3:0x40
	s_mov_b32 s2, exec_lo
	v_sub_nc_u32_e32 v6, v8, v9
	s_wait_kmcnt 0x0
	s_add_nc_u64 s[0:1], s[4:5], s[8:9]
	s_add_nc_u64 s[4:5], s[6:7], s[8:9]
	s_clause 0x1
	global_load_b32 v5, v0, s[0:1] scale_offset
	global_load_b32 v1, v0, s[4:5] scale_offset
	v_add_nc_u32_e32 v4, -1, v10
	v_cmp_lt_i32_e32 vcc_lo, 0, v10
	s_wait_loadcnt 0x0
	s_barrier_signal -1
	s_barrier_wait -1
	v_dual_cndmask_b32 v11, 0, v4 :: v_dual_min_i32 v4, v10, v6
	ds_store_b32 v2, v5
	s_wait_dscnt 0x0
	s_barrier_signal -1
	s_barrier_wait -1
	s_wait_xcnt 0x0
	v_cmpx_lt_i32_e64 v11, v4
	s_cbranch_execz .LBB21_4
; %bb.1:
	v_lshlrev_b32_e32 v5, 2, v10
	s_delay_alu instid0(VALU_DEP_1)
	v_lshl_add_u32 v5, v8, 2, v5
.LBB21_2:                               ; =>This Inner Loop Header: Depth=1
	v_sub_nc_u32_e32 v6, v4, v11
	s_delay_alu instid0(VALU_DEP_1) | instskip(NEXT) | instid1(VALU_DEP_1)
	v_lshrrev_b32_e32 v6, 1, v6
	v_add_nc_u32_e32 v6, v6, v11
	s_delay_alu instid0(VALU_DEP_1) | instskip(SKIP_1) | instid1(VALU_DEP_2)
	v_not_b32_e32 v7, v6
	v_lshl_add_u32 v13, v6, 2, v12
	v_lshl_add_u32 v7, v7, 2, v5
	ds_load_b32 v13, v13
	ds_load_b32 v7, v7
	s_wait_dscnt 0x0
	v_cmp_lt_u32_e32 vcc_lo, v7, v13
	v_dual_add_nc_u32 v14, 1, v6 :: v_dual_cndmask_b32 v4, v4, v6, vcc_lo
	s_delay_alu instid0(VALU_DEP_1) | instskip(NEXT) | instid1(VALU_DEP_1)
	v_cndmask_b32_e32 v11, v14, v11, vcc_lo
	v_cmp_ge_i32_e32 vcc_lo, v11, v4
	s_or_b32 s3, vcc_lo, s3
	s_delay_alu instid0(SALU_CYCLE_1)
	s_and_not1_b32 exec_lo, exec_lo, s3
	s_cbranch_execnz .LBB21_2
; %bb.3:
	s_or_b32 exec_lo, exec_lo, s3
.LBB21_4:
	s_delay_alu instid0(SALU_CYCLE_1) | instskip(SKIP_4) | instid1(VALU_DEP_2)
	s_or_b32 exec_lo, exec_lo, s2
	v_add_nc_u64_e32 v[4:5], s[0:1], v[2:3]
	v_add_nc_u64_e32 v[6:7], s[4:5], v[2:3]
	v_add_nc_u32_e32 v3, v8, v10
	v_lshl_add_u32 v10, v11, 2, v12
	v_sub_nc_u32_e32 v3, v3, v11
	v_dual_add_nc_u32 v11, v11, v9 :: v_dual_bitop2_b32 v9, 60, v0 bitop3:0x40
	s_delay_alu instid0(VALU_DEP_2) | instskip(NEXT) | instid1(VALU_DEP_2)
	v_lshlrev_b32_e32 v12, 2, v3
	v_cmp_le_i32_e32 vcc_lo, v8, v11
	ds_load_b32 v10, v10
	ds_load_b32 v12, v12
	v_cmp_ge_i32_e64 s1, v8, v3
	s_wait_dscnt 0x0
	s_barrier_signal -1
	s_barrier_wait -1
	ds_store_b32 v2, v1
	s_wait_dscnt 0x0
	s_barrier_signal -1
	s_barrier_wait -1
	v_or_b32_e32 v8, 2, v9
	s_delay_alu instid0(VALU_DEP_1) | instskip(SKIP_2) | instid1(SALU_CYCLE_1)
	v_sub_nc_u32_e32 v14, v8, v9
	v_cmp_lt_u32_e64 s0, v12, v10
	s_or_b32 s0, vcc_lo, s0
	s_and_b32 vcc_lo, s1, s0
	s_mov_b32 s1, 0
	v_dual_cndmask_b32 v12, v10, v12, vcc_lo :: v_dual_cndmask_b32 v10, v11, v3, vcc_lo
	v_add_nc_u32_e32 v3, 4, v9
	s_mov_b32 s0, exec_lo
	s_delay_alu instid0(VALU_DEP_2) | instskip(NEXT) | instid1(VALU_DEP_2)
	v_dual_lshlrev_b32 v1, 2, v10 :: v_dual_bitop2_b32 v10, 3, v0 bitop3:0x40
	v_sub_nc_u32_e32 v11, v3, v8
	ds_load_b32 v1, v1
	s_wait_dscnt 0x0
	v_sub_nc_u32_e32 v13, v10, v11
	v_cmp_ge_i32_e32 vcc_lo, v10, v11
	s_barrier_signal -1
	s_barrier_wait -1
	ds_store_b32 v2, v12
	v_lshlrev_b32_e32 v12, 2, v9
	v_dual_cndmask_b32 v11, 0, v13, vcc_lo :: v_dual_min_i32 v13, v10, v14
	s_wait_dscnt 0x0
	s_barrier_signal -1
	s_barrier_wait -1
	s_delay_alu instid0(VALU_DEP_1)
	v_cmpx_lt_i32_e64 v11, v13
	s_cbranch_execz .LBB21_8
; %bb.5:
	v_lshlrev_b32_e32 v14, 2, v10
	s_delay_alu instid0(VALU_DEP_1)
	v_lshl_add_u32 v14, v8, 2, v14
.LBB21_6:                               ; =>This Inner Loop Header: Depth=1
	v_sub_nc_u32_e32 v15, v13, v11
	s_delay_alu instid0(VALU_DEP_1) | instskip(NEXT) | instid1(VALU_DEP_1)
	v_lshrrev_b32_e32 v15, 1, v15
	v_add_nc_u32_e32 v15, v15, v11
	s_delay_alu instid0(VALU_DEP_1) | instskip(SKIP_1) | instid1(VALU_DEP_2)
	v_not_b32_e32 v16, v15
	v_lshl_add_u32 v17, v15, 2, v12
	v_lshl_add_u32 v16, v16, 2, v14
	ds_load_b32 v17, v17
	ds_load_b32 v16, v16
	s_wait_dscnt 0x0
	v_cmp_lt_u32_e32 vcc_lo, v16, v17
	v_dual_cndmask_b32 v13, v13, v15 :: v_dual_add_nc_u32 v18, 1, v15
	s_delay_alu instid0(VALU_DEP_1) | instskip(NEXT) | instid1(VALU_DEP_1)
	v_cndmask_b32_e32 v11, v18, v11, vcc_lo
	v_cmp_ge_i32_e32 vcc_lo, v11, v13
	s_or_b32 s1, vcc_lo, s1
	s_delay_alu instid0(SALU_CYCLE_1)
	s_and_not1_b32 exec_lo, exec_lo, s1
	s_cbranch_execnz .LBB21_6
; %bb.7:
	s_or_b32 exec_lo, exec_lo, s1
.LBB21_8:
	s_delay_alu instid0(SALU_CYCLE_1) | instskip(SKIP_2) | instid1(VALU_DEP_2)
	s_or_b32 exec_lo, exec_lo, s0
	v_add_nc_u32_e32 v10, v8, v10
	v_lshl_add_u32 v12, v11, 2, v12
	v_dual_sub_nc_u32 v10, v10, v11 :: v_dual_add_nc_u32 v11, v11, v9
	s_delay_alu instid0(VALU_DEP_1) | instskip(NEXT) | instid1(VALU_DEP_2)
	v_dual_lshlrev_b32 v13, 2, v10 :: v_dual_bitop2_b32 v9, 56, v0 bitop3:0x40
	v_cmp_le_i32_e32 vcc_lo, v8, v11
	v_cmp_gt_i32_e64 s1, v3, v10
	s_delay_alu instid0(VALU_DEP_3)
	v_dual_add_nc_u32 v3, 8, v9 :: v_dual_bitop2_b32 v8, 4, v9 bitop3:0x54
	ds_load_b32 v12, v12
	ds_load_b32 v13, v13
	s_wait_dscnt 0x0
	s_barrier_signal -1
	s_barrier_wait -1
	ds_store_b32 v2, v1
	s_wait_dscnt 0x0
	s_barrier_signal -1
	s_barrier_wait -1
	v_sub_nc_u32_e32 v14, v8, v9
	v_cmp_lt_u32_e64 s0, v13, v12
	s_or_b32 s0, vcc_lo, s0
	s_delay_alu instid0(SALU_CYCLE_1) | instskip(SKIP_3) | instid1(VALU_DEP_1)
	s_and_b32 vcc_lo, s1, s0
	s_mov_b32 s1, 0
	v_dual_cndmask_b32 v10, v11, v10, vcc_lo :: v_dual_cndmask_b32 v12, v12, v13, vcc_lo
	s_mov_b32 s0, exec_lo
	v_dual_lshlrev_b32 v1, 2, v10 :: v_dual_bitop2_b32 v10, 7, v0 bitop3:0x40
	v_sub_nc_u32_e32 v11, v3, v8
	ds_load_b32 v1, v1
	s_wait_dscnt 0x0
	v_sub_nc_u32_e32 v13, v10, v11
	v_cmp_ge_i32_e32 vcc_lo, v10, v11
	s_barrier_signal -1
	s_barrier_wait -1
	ds_store_b32 v2, v12
	v_lshlrev_b32_e32 v12, 2, v9
	v_dual_cndmask_b32 v11, 0, v13, vcc_lo :: v_dual_min_i32 v13, v10, v14
	s_wait_dscnt 0x0
	s_barrier_signal -1
	s_barrier_wait -1
	s_delay_alu instid0(VALU_DEP_1)
	v_cmpx_lt_i32_e64 v11, v13
	s_cbranch_execz .LBB21_12
; %bb.9:
	v_lshlrev_b32_e32 v14, 2, v10
	s_delay_alu instid0(VALU_DEP_1)
	v_lshl_add_u32 v14, v8, 2, v14
.LBB21_10:                              ; =>This Inner Loop Header: Depth=1
	v_sub_nc_u32_e32 v15, v13, v11
	s_delay_alu instid0(VALU_DEP_1) | instskip(NEXT) | instid1(VALU_DEP_1)
	v_lshrrev_b32_e32 v15, 1, v15
	v_add_nc_u32_e32 v15, v15, v11
	s_delay_alu instid0(VALU_DEP_1) | instskip(SKIP_1) | instid1(VALU_DEP_2)
	v_not_b32_e32 v16, v15
	v_lshl_add_u32 v17, v15, 2, v12
	v_lshl_add_u32 v16, v16, 2, v14
	ds_load_b32 v17, v17
	ds_load_b32 v16, v16
	s_wait_dscnt 0x0
	v_cmp_lt_u32_e32 vcc_lo, v16, v17
	v_dual_cndmask_b32 v13, v13, v15 :: v_dual_add_nc_u32 v18, 1, v15
	s_delay_alu instid0(VALU_DEP_1) | instskip(NEXT) | instid1(VALU_DEP_1)
	v_cndmask_b32_e32 v11, v18, v11, vcc_lo
	v_cmp_ge_i32_e32 vcc_lo, v11, v13
	s_or_b32 s1, vcc_lo, s1
	s_delay_alu instid0(SALU_CYCLE_1)
	s_and_not1_b32 exec_lo, exec_lo, s1
	s_cbranch_execnz .LBB21_10
; %bb.11:
	s_or_b32 exec_lo, exec_lo, s1
.LBB21_12:
	s_delay_alu instid0(SALU_CYCLE_1) | instskip(SKIP_2) | instid1(VALU_DEP_2)
	s_or_b32 exec_lo, exec_lo, s0
	v_add_nc_u32_e32 v10, v8, v10
	v_lshl_add_u32 v12, v11, 2, v12
	v_dual_sub_nc_u32 v10, v10, v11 :: v_dual_add_nc_u32 v11, v11, v9
	s_delay_alu instid0(VALU_DEP_1) | instskip(NEXT) | instid1(VALU_DEP_2)
	v_dual_lshlrev_b32 v13, 2, v10 :: v_dual_bitop2_b32 v9, 48, v0 bitop3:0x40
	v_cmp_le_i32_e32 vcc_lo, v8, v11
	v_cmp_gt_i32_e64 s1, v3, v10
	s_delay_alu instid0(VALU_DEP_3)
	v_dual_add_nc_u32 v3, 16, v9 :: v_dual_bitop2_b32 v8, 8, v9 bitop3:0x54
	ds_load_b32 v12, v12
	ds_load_b32 v13, v13
	s_wait_dscnt 0x0
	s_barrier_signal -1
	s_barrier_wait -1
	ds_store_b32 v2, v1
	s_wait_dscnt 0x0
	s_barrier_signal -1
	s_barrier_wait -1
	v_sub_nc_u32_e32 v14, v8, v9
	v_cmp_lt_u32_e64 s0, v13, v12
	s_or_b32 s0, vcc_lo, s0
	s_delay_alu instid0(SALU_CYCLE_1) | instskip(SKIP_3) | instid1(VALU_DEP_1)
	s_and_b32 vcc_lo, s1, s0
	s_mov_b32 s1, 0
	v_dual_cndmask_b32 v10, v11, v10, vcc_lo :: v_dual_cndmask_b32 v12, v12, v13, vcc_lo
	s_mov_b32 s0, exec_lo
	v_dual_lshlrev_b32 v1, 2, v10 :: v_dual_bitop2_b32 v10, 15, v0 bitop3:0x40
	v_sub_nc_u32_e32 v11, v3, v8
	ds_load_b32 v1, v1
	s_wait_dscnt 0x0
	v_sub_nc_u32_e32 v13, v10, v11
	v_cmp_ge_i32_e32 vcc_lo, v10, v11
	s_barrier_signal -1
	s_barrier_wait -1
	ds_store_b32 v2, v12
	v_lshlrev_b32_e32 v12, 2, v9
	v_dual_cndmask_b32 v11, 0, v13, vcc_lo :: v_dual_min_i32 v13, v10, v14
	s_wait_dscnt 0x0
	s_barrier_signal -1
	s_barrier_wait -1
	s_delay_alu instid0(VALU_DEP_1)
	v_cmpx_lt_i32_e64 v11, v13
	s_cbranch_execz .LBB21_16
; %bb.13:
	v_lshlrev_b32_e32 v14, 2, v10
	s_delay_alu instid0(VALU_DEP_1)
	v_lshl_add_u32 v14, v8, 2, v14
.LBB21_14:                              ; =>This Inner Loop Header: Depth=1
	v_sub_nc_u32_e32 v15, v13, v11
	s_delay_alu instid0(VALU_DEP_1) | instskip(NEXT) | instid1(VALU_DEP_1)
	v_lshrrev_b32_e32 v15, 1, v15
	v_add_nc_u32_e32 v15, v15, v11
	s_delay_alu instid0(VALU_DEP_1) | instskip(SKIP_1) | instid1(VALU_DEP_2)
	v_not_b32_e32 v16, v15
	v_lshl_add_u32 v17, v15, 2, v12
	v_lshl_add_u32 v16, v16, 2, v14
	ds_load_b32 v17, v17
	ds_load_b32 v16, v16
	s_wait_dscnt 0x0
	v_cmp_lt_u32_e32 vcc_lo, v16, v17
	v_dual_cndmask_b32 v13, v13, v15 :: v_dual_add_nc_u32 v18, 1, v15
	s_delay_alu instid0(VALU_DEP_1) | instskip(NEXT) | instid1(VALU_DEP_1)
	v_cndmask_b32_e32 v11, v18, v11, vcc_lo
	v_cmp_ge_i32_e32 vcc_lo, v11, v13
	s_or_b32 s1, vcc_lo, s1
	s_delay_alu instid0(SALU_CYCLE_1)
	s_and_not1_b32 exec_lo, exec_lo, s1
	s_cbranch_execnz .LBB21_14
; %bb.15:
	s_or_b32 exec_lo, exec_lo, s1
.LBB21_16:
	s_delay_alu instid0(SALU_CYCLE_1) | instskip(SKIP_2) | instid1(VALU_DEP_2)
	s_or_b32 exec_lo, exec_lo, s0
	v_add_nc_u32_e32 v10, v8, v10
	v_lshl_add_u32 v12, v11, 2, v12
	v_dual_sub_nc_u32 v10, v10, v11 :: v_dual_add_nc_u32 v11, v11, v9
	s_delay_alu instid0(VALU_DEP_1) | instskip(NEXT) | instid1(VALU_DEP_2)
	v_dual_lshlrev_b32 v13, 2, v10 :: v_dual_bitop2_b32 v9, 32, v0 bitop3:0x40
	v_cmp_le_i32_e32 vcc_lo, v8, v11
	v_cmp_gt_i32_e64 s1, v3, v10
	s_delay_alu instid0(VALU_DEP_3)
	v_dual_add_nc_u32 v3, 32, v9 :: v_dual_bitop2_b32 v8, 16, v9 bitop3:0x54
	ds_load_b32 v12, v12
	ds_load_b32 v13, v13
	s_wait_dscnt 0x0
	s_barrier_signal -1
	s_barrier_wait -1
	ds_store_b32 v2, v1
	s_wait_dscnt 0x0
	s_barrier_signal -1
	s_barrier_wait -1
	v_sub_nc_u32_e32 v14, v8, v9
	v_cmp_lt_u32_e64 s0, v13, v12
	s_or_b32 s0, vcc_lo, s0
	s_delay_alu instid0(SALU_CYCLE_1) | instskip(SKIP_3) | instid1(VALU_DEP_1)
	s_and_b32 vcc_lo, s1, s0
	s_mov_b32 s1, 0
	v_dual_cndmask_b32 v10, v11, v10, vcc_lo :: v_dual_cndmask_b32 v12, v12, v13, vcc_lo
	s_mov_b32 s0, exec_lo
	v_dual_lshlrev_b32 v1, 2, v10 :: v_dual_bitop2_b32 v10, 31, v0 bitop3:0x40
	v_sub_nc_u32_e32 v11, v3, v8
	ds_load_b32 v1, v1
	s_wait_dscnt 0x0
	v_sub_nc_u32_e32 v13, v10, v11
	v_cmp_ge_i32_e32 vcc_lo, v10, v11
	s_barrier_signal -1
	s_barrier_wait -1
	ds_store_b32 v2, v12
	v_lshlrev_b32_e32 v12, 2, v9
	v_dual_cndmask_b32 v11, 0, v13, vcc_lo :: v_dual_min_i32 v13, v10, v14
	s_wait_dscnt 0x0
	s_barrier_signal -1
	s_barrier_wait -1
	s_delay_alu instid0(VALU_DEP_1)
	v_cmpx_lt_i32_e64 v11, v13
	s_cbranch_execz .LBB21_20
; %bb.17:
	v_lshlrev_b32_e32 v14, 2, v10
	s_delay_alu instid0(VALU_DEP_1)
	v_lshl_add_u32 v14, v8, 2, v14
.LBB21_18:                              ; =>This Inner Loop Header: Depth=1
	v_sub_nc_u32_e32 v15, v13, v11
	s_delay_alu instid0(VALU_DEP_1) | instskip(NEXT) | instid1(VALU_DEP_1)
	v_lshrrev_b32_e32 v15, 1, v15
	v_add_nc_u32_e32 v15, v15, v11
	s_delay_alu instid0(VALU_DEP_1) | instskip(SKIP_1) | instid1(VALU_DEP_2)
	v_not_b32_e32 v16, v15
	v_lshl_add_u32 v17, v15, 2, v12
	v_lshl_add_u32 v16, v16, 2, v14
	ds_load_b32 v17, v17
	ds_load_b32 v16, v16
	s_wait_dscnt 0x0
	v_cmp_lt_u32_e32 vcc_lo, v16, v17
	v_dual_cndmask_b32 v13, v13, v15 :: v_dual_add_nc_u32 v18, 1, v15
	s_delay_alu instid0(VALU_DEP_1) | instskip(NEXT) | instid1(VALU_DEP_1)
	v_cndmask_b32_e32 v11, v18, v11, vcc_lo
	v_cmp_ge_i32_e32 vcc_lo, v11, v13
	s_or_b32 s1, vcc_lo, s1
	s_delay_alu instid0(SALU_CYCLE_1)
	s_and_not1_b32 exec_lo, exec_lo, s1
	s_cbranch_execnz .LBB21_18
; %bb.19:
	s_or_b32 exec_lo, exec_lo, s1
.LBB21_20:
	s_delay_alu instid0(SALU_CYCLE_1) | instskip(SKIP_2) | instid1(VALU_DEP_2)
	s_or_b32 exec_lo, exec_lo, s0
	v_dual_add_nc_u32 v10, v8, v10 :: v_dual_add_nc_u32 v9, v11, v9
	v_lshl_add_u32 v12, v11, 2, v12
	v_sub_nc_u32_e32 v10, v10, v11
	s_delay_alu instid0(VALU_DEP_3) | instskip(NEXT) | instid1(VALU_DEP_2)
	v_cmp_le_i32_e32 vcc_lo, v8, v9
	v_dual_lshlrev_b32 v13, 2, v10 :: v_dual_min_i32 v8, 32, v0
	ds_load_b32 v12, v12
	ds_load_b32 v13, v13
	v_cmp_gt_i32_e64 s1, v3, v10
	s_wait_dscnt 0x0
	s_barrier_signal -1
	s_barrier_wait -1
	ds_store_b32 v2, v1
	s_wait_dscnt 0x0
	s_barrier_signal -1
	s_barrier_wait -1
	v_cmp_lt_u32_e64 s0, v13, v12
	s_or_b32 s0, vcc_lo, s0
	s_delay_alu instid0(SALU_CYCLE_1) | instskip(SKIP_2) | instid1(VALU_DEP_1)
	s_and_b32 vcc_lo, s1, s0
	s_mov_b32 s0, exec_lo
	v_dual_cndmask_b32 v11, v12, v13, vcc_lo :: v_dual_cndmask_b32 v3, v9, v10, vcc_lo
	v_lshlrev_b32_e32 v1, 2, v3
	v_sub_nc_u32_e64 v3, v0, 32 clamp
	ds_load_b32 v1, v1
	s_wait_dscnt 0x0
	s_barrier_signal -1
	s_barrier_wait -1
	ds_store_b32 v2, v11
	s_wait_dscnt 0x0
	s_barrier_signal -1
	s_barrier_wait -1
	v_cmpx_lt_i32_e64 v3, v8
	s_cbranch_execz .LBB21_24
; %bb.21:
	v_lshl_add_u32 v9, 32, 2, v2
	s_mov_b32 s1, 0
.LBB21_22:                              ; =>This Inner Loop Header: Depth=1
	v_sub_nc_u32_e32 v10, v8, v3
	s_delay_alu instid0(VALU_DEP_1) | instskip(NEXT) | instid1(VALU_DEP_1)
	v_lshrrev_b32_e32 v10, 1, v10
	v_add_nc_u32_e32 v10, v10, v3
	s_delay_alu instid0(VALU_DEP_1) | instskip(SKIP_1) | instid1(VALU_DEP_2)
	v_not_b32_e32 v11, v10
	v_dual_lshlrev_b32 v12, 2, v10 :: v_dual_add_nc_u32 v13, 1, v10
	v_lshl_add_u32 v11, v11, 2, v9
	ds_load_b32 v12, v12
	ds_load_b32 v11, v11
	s_wait_dscnt 0x0
	v_cmp_lt_u32_e32 vcc_lo, v11, v12
	v_dual_cndmask_b32 v8, v8, v10 :: v_dual_cndmask_b32 v3, v13, v3
	s_delay_alu instid0(VALU_DEP_1) | instskip(SKIP_1) | instid1(SALU_CYCLE_1)
	v_cmp_ge_i32_e32 vcc_lo, v3, v8
	s_or_b32 s1, vcc_lo, s1
	s_and_not1_b32 exec_lo, exec_lo, s1
	s_cbranch_execnz .LBB21_22
; %bb.23:
	s_or_b32 exec_lo, exec_lo, s1
.LBB21_24:
	s_delay_alu instid0(SALU_CYCLE_1) | instskip(SKIP_2) | instid1(VALU_DEP_2)
	s_or_b32 exec_lo, exec_lo, s0
	v_dual_add_nc_u32 v0, 32, v0 :: v_dual_lshlrev_b32 v8, 2, v3
	v_cmp_le_i32_e32 vcc_lo, 32, v3
	v_sub_nc_u32_e32 v0, v0, v3
	s_delay_alu instid0(VALU_DEP_1)
	v_lshlrev_b32_e32 v9, 2, v0
	v_cmp_gt_i32_e64 s1, 64, v0
	ds_load_b32 v8, v8
	ds_load_b32 v9, v9
	s_wait_dscnt 0x0
	s_barrier_signal -1
	s_barrier_wait -1
	ds_store_b32 v2, v1
	s_wait_dscnt 0x0
	s_barrier_signal -1
	s_barrier_wait -1
	v_cmp_lt_u32_e64 s0, v9, v8
	s_or_b32 s0, vcc_lo, s0
	s_delay_alu instid0(SALU_CYCLE_1) | instskip(NEXT) | instid1(SALU_CYCLE_1)
	s_and_b32 vcc_lo, s1, s0
	v_dual_cndmask_b32 v0, v3, v0, vcc_lo :: v_dual_cndmask_b32 v8, v8, v9, vcc_lo
	s_delay_alu instid0(VALU_DEP_1)
	v_lshlrev_b32_e32 v0, 2, v0
	ds_load_b32 v0, v0
	global_store_b32 v[4:5], v8, off
	s_wait_dscnt 0x0
	global_store_b32 v[6:7], v0, off
	s_endpgm
	.section	.rodata,"a",@progbits
	.p2align	6, 0x0
	.amdhsa_kernel _Z21sort_key_value_kernelILj64ELj1EjiN10test_utils4lessEEvPT1_PT2_T3_
		.amdhsa_group_segment_fixed_size 260
		.amdhsa_private_segment_fixed_size 0
		.amdhsa_kernarg_size 20
		.amdhsa_user_sgpr_count 2
		.amdhsa_user_sgpr_dispatch_ptr 0
		.amdhsa_user_sgpr_queue_ptr 0
		.amdhsa_user_sgpr_kernarg_segment_ptr 1
		.amdhsa_user_sgpr_dispatch_id 0
		.amdhsa_user_sgpr_kernarg_preload_length 0
		.amdhsa_user_sgpr_kernarg_preload_offset 0
		.amdhsa_user_sgpr_private_segment_size 0
		.amdhsa_wavefront_size32 1
		.amdhsa_uses_dynamic_stack 0
		.amdhsa_enable_private_segment 0
		.amdhsa_system_sgpr_workgroup_id_x 1
		.amdhsa_system_sgpr_workgroup_id_y 0
		.amdhsa_system_sgpr_workgroup_id_z 0
		.amdhsa_system_sgpr_workgroup_info 0
		.amdhsa_system_vgpr_workitem_id 0
		.amdhsa_next_free_vgpr 19
		.amdhsa_next_free_sgpr 10
		.amdhsa_named_barrier_count 0
		.amdhsa_reserve_vcc 1
		.amdhsa_float_round_mode_32 0
		.amdhsa_float_round_mode_16_64 0
		.amdhsa_float_denorm_mode_32 3
		.amdhsa_float_denorm_mode_16_64 3
		.amdhsa_fp16_overflow 0
		.amdhsa_memory_ordered 1
		.amdhsa_forward_progress 1
		.amdhsa_inst_pref_size 19
		.amdhsa_round_robin_scheduling 0
		.amdhsa_exception_fp_ieee_invalid_op 0
		.amdhsa_exception_fp_denorm_src 0
		.amdhsa_exception_fp_ieee_div_zero 0
		.amdhsa_exception_fp_ieee_overflow 0
		.amdhsa_exception_fp_ieee_underflow 0
		.amdhsa_exception_fp_ieee_inexact 0
		.amdhsa_exception_int_div_zero 0
	.end_amdhsa_kernel
	.section	.text._Z21sort_key_value_kernelILj64ELj1EjiN10test_utils4lessEEvPT1_PT2_T3_,"axG",@progbits,_Z21sort_key_value_kernelILj64ELj1EjiN10test_utils4lessEEvPT1_PT2_T3_,comdat
.Lfunc_end21:
	.size	_Z21sort_key_value_kernelILj64ELj1EjiN10test_utils4lessEEvPT1_PT2_T3_, .Lfunc_end21-_Z21sort_key_value_kernelILj64ELj1EjiN10test_utils4lessEEvPT1_PT2_T3_
                                        ; -- End function
	.set _Z21sort_key_value_kernelILj64ELj1EjiN10test_utils4lessEEvPT1_PT2_T3_.num_vgpr, 19
	.set _Z21sort_key_value_kernelILj64ELj1EjiN10test_utils4lessEEvPT1_PT2_T3_.num_agpr, 0
	.set _Z21sort_key_value_kernelILj64ELj1EjiN10test_utils4lessEEvPT1_PT2_T3_.numbered_sgpr, 10
	.set _Z21sort_key_value_kernelILj64ELj1EjiN10test_utils4lessEEvPT1_PT2_T3_.num_named_barrier, 0
	.set _Z21sort_key_value_kernelILj64ELj1EjiN10test_utils4lessEEvPT1_PT2_T3_.private_seg_size, 0
	.set _Z21sort_key_value_kernelILj64ELj1EjiN10test_utils4lessEEvPT1_PT2_T3_.uses_vcc, 1
	.set _Z21sort_key_value_kernelILj64ELj1EjiN10test_utils4lessEEvPT1_PT2_T3_.uses_flat_scratch, 0
	.set _Z21sort_key_value_kernelILj64ELj1EjiN10test_utils4lessEEvPT1_PT2_T3_.has_dyn_sized_stack, 0
	.set _Z21sort_key_value_kernelILj64ELj1EjiN10test_utils4lessEEvPT1_PT2_T3_.has_recursion, 0
	.set _Z21sort_key_value_kernelILj64ELj1EjiN10test_utils4lessEEvPT1_PT2_T3_.has_indirect_call, 0
	.section	.AMDGPU.csdata,"",@progbits
; Kernel info:
; codeLenInByte = 2360
; TotalNumSgprs: 12
; NumVgprs: 19
; ScratchSize: 0
; MemoryBound: 0
; FloatMode: 240
; IeeeMode: 1
; LDSByteSize: 260 bytes/workgroup (compile time only)
; SGPRBlocks: 0
; VGPRBlocks: 1
; NumSGPRsForWavesPerEU: 12
; NumVGPRsForWavesPerEU: 19
; NamedBarCnt: 0
; Occupancy: 16
; WaveLimiterHint : 0
; COMPUTE_PGM_RSRC2:SCRATCH_EN: 0
; COMPUTE_PGM_RSRC2:USER_SGPR: 2
; COMPUTE_PGM_RSRC2:TRAP_HANDLER: 0
; COMPUTE_PGM_RSRC2:TGID_X_EN: 1
; COMPUTE_PGM_RSRC2:TGID_Y_EN: 0
; COMPUTE_PGM_RSRC2:TGID_Z_EN: 0
; COMPUTE_PGM_RSRC2:TIDIG_COMP_CNT: 0
	.section	.AMDGPU.gpr_maximums,"",@progbits
	.set amdgpu.max_num_vgpr, 0
	.set amdgpu.max_num_agpr, 0
	.set amdgpu.max_num_sgpr, 0
	.section	.AMDGPU.csdata,"",@progbits
	.type	__hip_cuid_3b647d68384a6589,@object ; @__hip_cuid_3b647d68384a6589
	.section	.bss,"aw",@nobits
	.globl	__hip_cuid_3b647d68384a6589
__hip_cuid_3b647d68384a6589:
	.byte	0                               ; 0x0
	.size	__hip_cuid_3b647d68384a6589, 1

	.ident	"AMD clang version 22.0.0git (https://github.com/RadeonOpenCompute/llvm-project roc-7.2.4 26084 f58b06dce1f9c15707c5f808fd002e18c2accf7e)"
	.section	".note.GNU-stack","",@progbits
	.addrsig
	.addrsig_sym __hip_cuid_3b647d68384a6589
	.amdgpu_metadata
---
amdhsa.kernels:
  - .args:
      - .address_space:  global
        .offset:         0
        .size:           8
        .value_kind:     global_buffer
      - .offset:         8
        .size:           1
        .value_kind:     by_value
    .group_segment_fixed_size: 1025
    .kernarg_segment_align: 8
    .kernarg_segment_size: 12
    .language:       OpenCL C
    .language_version:
      - 2
      - 0
    .max_flat_workgroup_size: 512
    .name:           _Z15sort_key_kernelILj512ELj2EhN10test_utils4lessEEvPT1_T2_
    .private_segment_fixed_size: 0
    .sgpr_count:     7
    .sgpr_spill_count: 0
    .symbol:         _Z15sort_key_kernelILj512ELj2EhN10test_utils4lessEEvPT1_T2_.kd
    .uniform_work_group_size: 1
    .uses_dynamic_stack: false
    .vgpr_count:     16
    .vgpr_spill_count: 0
    .wavefront_size: 32
  - .args:
      - .address_space:  global
        .offset:         0
        .size:           8
        .value_kind:     global_buffer
      - .offset:         8
        .size:           1
        .value_kind:     by_value
    .group_segment_fixed_size: 520
    .kernarg_segment_align: 8
    .kernarg_segment_size: 12
    .language:       OpenCL C
    .language_version:
      - 2
      - 0
    .max_flat_workgroup_size: 64
    .name:           _Z15sort_key_kernelILj64ELj1EyN10test_utils4lessEEvPT1_T2_
    .private_segment_fixed_size: 0
    .sgpr_count:     8
    .sgpr_spill_count: 0
    .symbol:         _Z15sort_key_kernelILj64ELj1EyN10test_utils4lessEEvPT1_T2_.kd
    .uniform_work_group_size: 1
    .uses_dynamic_stack: false
    .vgpr_count:     17
    .vgpr_spill_count: 0
    .wavefront_size: 32
  - .args:
      - .address_space:  global
        .offset:         0
        .size:           8
        .value_kind:     global_buffer
      - .offset:         8
        .size:           1
        .value_kind:     by_value
    .group_segment_fixed_size: 3586
    .kernarg_segment_align: 8
    .kernarg_segment_size: 12
    .language:       OpenCL C
    .language_version:
      - 2
      - 0
    .max_flat_workgroup_size: 256
    .name:           _Z15sort_key_kernelILj256ELj7EtN10test_utils4lessEEvPT1_T2_
    .private_segment_fixed_size: 0
    .sgpr_count:     9
    .sgpr_spill_count: 0
    .symbol:         _Z15sort_key_kernelILj256ELj7EtN10test_utils4lessEEvPT1_T2_.kd
    .uniform_work_group_size: 1
    .uses_dynamic_stack: false
    .vgpr_count:     36
    .vgpr_spill_count: 0
    .wavefront_size: 32
  - .args:
      - .address_space:  global
        .offset:         0
        .size:           8
        .value_kind:     global_buffer
      - .offset:         8
        .size:           1
        .value_kind:     by_value
    .group_segment_fixed_size: 2052
    .kernarg_segment_align: 8
    .kernarg_segment_size: 12
    .language:       OpenCL C
    .language_version:
      - 2
      - 0
    .max_flat_workgroup_size: 128
    .name:           _Z15sort_key_kernelILj128ELj4EiN10test_utils4lessEEvPT1_T2_
    .private_segment_fixed_size: 0
    .sgpr_count:     8
    .sgpr_spill_count: 0
    .symbol:         _Z15sort_key_kernelILj128ELj4EiN10test_utils4lessEEvPT1_T2_.kd
    .uniform_work_group_size: 1
    .uses_dynamic_stack: false
    .vgpr_count:     20
    .vgpr_spill_count: 0
    .wavefront_size: 32
  - .args:
      - .address_space:  global
        .offset:         0
        .size:           8
        .value_kind:     global_buffer
      - .offset:         8
        .size:           1
        .value_kind:     by_value
    .group_segment_fixed_size: 258
    .kernarg_segment_align: 8
    .kernarg_segment_size: 12
    .language:       OpenCL C
    .language_version:
      - 2
      - 0
    .max_flat_workgroup_size: 64
    .name:           _Z15sort_key_kernelILj64ELj2E12hip_bfloat16N10test_utils7greaterEEvPT1_T2_
    .private_segment_fixed_size: 0
    .sgpr_count:     8
    .sgpr_spill_count: 0
    .symbol:         _Z15sort_key_kernelILj64ELj2E12hip_bfloat16N10test_utils7greaterEEvPT1_T2_.kd
    .uniform_work_group_size: 1
    .uses_dynamic_stack: false
    .vgpr_count:     18
    .vgpr_spill_count: 0
    .wavefront_size: 32
  - .args:
      - .address_space:  global
        .offset:         0
        .size:           8
        .value_kind:     global_buffer
      - .offset:         8
        .size:           1
        .value_kind:     by_value
    .group_segment_fixed_size: 258
    .kernarg_segment_align: 8
    .kernarg_segment_size: 12
    .language:       OpenCL C
    .language_version:
      - 2
      - 0
    .max_flat_workgroup_size: 64
    .name:           _Z15sort_key_kernelILj64ELj2E6__halfN10test_utils7greaterEEvPT1_T2_
    .private_segment_fixed_size: 0
    .sgpr_count:     8
    .sgpr_spill_count: 0
    .symbol:         _Z15sort_key_kernelILj64ELj2E6__halfN10test_utils7greaterEEvPT1_T2_.kd
    .uniform_work_group_size: 1
    .uses_dynamic_stack: false
    .vgpr_count:     16
    .vgpr_spill_count: 0
    .wavefront_size: 32
  - .args:
      - .address_space:  global
        .offset:         0
        .size:           8
        .value_kind:     global_buffer
      - .offset:         8
        .size:           1
        .value_kind:     by_value
    .group_segment_fixed_size: 516
    .kernarg_segment_align: 8
    .kernarg_segment_size: 12
    .language:       OpenCL C
    .language_version:
      - 2
      - 0
    .max_flat_workgroup_size: 64
    .name:           _Z15sort_key_kernelILj64ELj2EfN10test_utils7greaterEEvPT1_T2_
    .private_segment_fixed_size: 0
    .sgpr_count:     8
    .sgpr_spill_count: 0
    .symbol:         _Z15sort_key_kernelILj64ELj2EfN10test_utils7greaterEEvPT1_T2_.kd
    .uniform_work_group_size: 1
    .uses_dynamic_stack: false
    .vgpr_count:     16
    .vgpr_spill_count: 0
    .wavefront_size: 32
  - .args:
      - .address_space:  global
        .offset:         0
        .size:           8
        .value_kind:     global_buffer
      - .offset:         8
        .size:           1
        .value_kind:     by_value
    .group_segment_fixed_size: 2050
    .kernarg_segment_align: 8
    .kernarg_segment_size: 12
    .language:       OpenCL C
    .language_version:
      - 2
      - 0
    .max_flat_workgroup_size: 1024
    .name:           _Z15sort_key_kernelILj1024ELj1EtN10test_utils7greaterEEvPT1_T2_
    .private_segment_fixed_size: 0
    .sgpr_count:     8
    .sgpr_spill_count: 0
    .symbol:         _Z15sort_key_kernelILj1024ELj1EtN10test_utils7greaterEEvPT1_T2_.kd
    .uniform_work_group_size: 1
    .uses_dynamic_stack: false
    .vgpr_count:     15
    .vgpr_spill_count: 0
    .wavefront_size: 32
  - .args:
      - .address_space:  global
        .offset:         0
        .size:           8
        .value_kind:     global_buffer
      - .offset:         8
        .size:           1
        .value_kind:     by_value
    .group_segment_fixed_size: 1028
    .kernarg_segment_align: 8
    .kernarg_segment_size: 12
    .language:       OpenCL C
    .language_version:
      - 2
      - 0
    .max_flat_workgroup_size: 256
    .name:           _Z15sort_key_kernelILj256ELj1EjN10test_utils4lessEEvPT1_T2_
    .private_segment_fixed_size: 0
    .sgpr_count:     8
    .sgpr_spill_count: 0
    .symbol:         _Z15sort_key_kernelILj256ELj1EjN10test_utils4lessEEvPT1_T2_.kd
    .uniform_work_group_size: 1
    .uses_dynamic_stack: false
    .vgpr_count:     16
    .vgpr_spill_count: 0
    .wavefront_size: 32
  - .args:
      - .address_space:  global
        .offset:         0
        .size:           8
        .value_kind:     global_buffer
      - .offset:         8
        .size:           1
        .value_kind:     by_value
    .group_segment_fixed_size: 516
    .kernarg_segment_align: 8
    .kernarg_segment_size: 12
    .language:       OpenCL C
    .language_version:
      - 2
      - 0
    .max_flat_workgroup_size: 128
    .name:           _Z15sort_key_kernelILj128ELj1EiN10test_utils4lessEEvPT1_T2_
    .private_segment_fixed_size: 0
    .sgpr_count:     8
    .sgpr_spill_count: 0
    .symbol:         _Z15sort_key_kernelILj128ELj1EiN10test_utils4lessEEvPT1_T2_.kd
    .uniform_work_group_size: 1
    .uses_dynamic_stack: false
    .vgpr_count:     16
    .vgpr_spill_count: 0
    .wavefront_size: 32
  - .args:
      - .address_space:  global
        .offset:         0
        .size:           8
        .value_kind:     global_buffer
      - .offset:         8
        .size:           1
        .value_kind:     by_value
    .group_segment_fixed_size: 260
    .kernarg_segment_align: 8
    .kernarg_segment_size: 12
    .language:       OpenCL C
    .language_version:
      - 2
      - 0
    .max_flat_workgroup_size: 64
    .name:           _Z15sort_key_kernelILj64ELj1EjN10test_utils4lessEEvPT1_T2_
    .private_segment_fixed_size: 0
    .sgpr_count:     8
    .sgpr_spill_count: 0
    .symbol:         _Z15sort_key_kernelILj64ELj1EjN10test_utils4lessEEvPT1_T2_.kd
    .uniform_work_group_size: 1
    .uses_dynamic_stack: false
    .vgpr_count:     16
    .vgpr_spill_count: 0
    .wavefront_size: 32
  - .args:
      - .address_space:  global
        .offset:         0
        .size:           8
        .value_kind:     global_buffer
      - .address_space:  global
        .offset:         8
        .size:           8
        .value_kind:     global_buffer
      - .offset:         16
        .size:           1
        .value_kind:     by_value
    .group_segment_fixed_size: 4100
    .kernarg_segment_align: 8
    .kernarg_segment_size: 20
    .language:       OpenCL C
    .language_version:
      - 2
      - 0
    .max_flat_workgroup_size: 512
    .name:           _Z21sort_key_value_kernelILj512ELj2EhiN10test_utils4lessEEvPT1_PT2_T3_
    .private_segment_fixed_size: 0
    .sgpr_count:     10
    .sgpr_spill_count: 0
    .symbol:         _Z21sort_key_value_kernelILj512ELj2EhiN10test_utils4lessEEvPT1_PT2_T3_.kd
    .uniform_work_group_size: 1
    .uses_dynamic_stack: false
    .vgpr_count:     20
    .vgpr_spill_count: 0
    .wavefront_size: 32
  - .args:
      - .address_space:  global
        .offset:         0
        .size:           8
        .value_kind:     global_buffer
      - .address_space:  global
        .offset:         8
        .size:           8
        .value_kind:     global_buffer
      - .offset:         16
        .size:           1
        .value_kind:     by_value
    .group_segment_fixed_size: 520
    .kernarg_segment_align: 8
    .kernarg_segment_size: 20
    .language:       OpenCL C
    .language_version:
      - 2
      - 0
    .max_flat_workgroup_size: 64
    .name:           _Z21sort_key_value_kernelILj64ELj1EycN10test_utils4lessEEvPT1_PT2_T3_
    .private_segment_fixed_size: 0
    .sgpr_count:     10
    .sgpr_spill_count: 0
    .symbol:         _Z21sort_key_value_kernelILj64ELj1EycN10test_utils4lessEEvPT1_PT2_T3_.kd
    .uniform_work_group_size: 1
    .uses_dynamic_stack: false
    .vgpr_count:     20
    .vgpr_spill_count: 0
    .wavefront_size: 32
  - .args:
      - .address_space:  global
        .offset:         0
        .size:           8
        .value_kind:     global_buffer
      - .address_space:  global
        .offset:         8
        .size:           8
        .value_kind:     global_buffer
      - .offset:         16
        .size:           1
        .value_kind:     by_value
    .group_segment_fixed_size: 3586
    .kernarg_segment_align: 8
    .kernarg_segment_size: 20
    .language:       OpenCL C
    .language_version:
      - 2
      - 0
    .max_flat_workgroup_size: 256
    .name:           _Z21sort_key_value_kernelILj256ELj7EtcN10test_utils4lessEEvPT1_PT2_T3_
    .private_segment_fixed_size: 0
    .sgpr_count:     30
    .sgpr_spill_count: 0
    .symbol:         _Z21sort_key_value_kernelILj256ELj7EtcN10test_utils4lessEEvPT1_PT2_T3_.kd
    .uniform_work_group_size: 1
    .uses_dynamic_stack: false
    .vgpr_count:     44
    .vgpr_spill_count: 0
    .wavefront_size: 32
  - .args:
      - .address_space:  global
        .offset:         0
        .size:           8
        .value_kind:     global_buffer
      - .address_space:  global
        .offset:         8
        .size:           8
        .value_kind:     global_buffer
      - .offset:         16
        .size:           1
        .value_kind:     by_value
    .group_segment_fixed_size: 2052
    .kernarg_segment_align: 8
    .kernarg_segment_size: 20
    .language:       OpenCL C
    .language_version:
      - 2
      - 0
    .max_flat_workgroup_size: 128
    .name:           _Z21sort_key_value_kernelILj128ELj4EisN10test_utils4lessEEvPT1_PT2_T3_
    .private_segment_fixed_size: 0
    .sgpr_count:     12
    .sgpr_spill_count: 0
    .symbol:         _Z21sort_key_value_kernelILj128ELj4EisN10test_utils4lessEEvPT1_PT2_T3_.kd
    .uniform_work_group_size: 1
    .uses_dynamic_stack: false
    .vgpr_count:     30
    .vgpr_spill_count: 0
    .wavefront_size: 32
  - .args:
      - .address_space:  global
        .offset:         0
        .size:           8
        .value_kind:     global_buffer
      - .address_space:  global
        .offset:         8
        .size:           8
        .value_kind:     global_buffer
      - .offset:         16
        .size:           1
        .value_kind:     by_value
    .group_segment_fixed_size: 258
    .kernarg_segment_align: 8
    .kernarg_segment_size: 20
    .language:       OpenCL C
    .language_version:
      - 2
      - 0
    .max_flat_workgroup_size: 64
    .name:           _Z21sort_key_value_kernelILj64ELj2E12hip_bfloat16S0_N10test_utils7greaterEEvPT1_PT2_T3_
    .private_segment_fixed_size: 0
    .sgpr_count:     12
    .sgpr_spill_count: 0
    .symbol:         _Z21sort_key_value_kernelILj64ELj2E12hip_bfloat16S0_N10test_utils7greaterEEvPT1_PT2_T3_.kd
    .uniform_work_group_size: 1
    .uses_dynamic_stack: false
    .vgpr_count:     21
    .vgpr_spill_count: 0
    .wavefront_size: 32
  - .args:
      - .address_space:  global
        .offset:         0
        .size:           8
        .value_kind:     global_buffer
      - .address_space:  global
        .offset:         8
        .size:           8
        .value_kind:     global_buffer
      - .offset:         16
        .size:           1
        .value_kind:     by_value
    .group_segment_fixed_size: 258
    .kernarg_segment_align: 8
    .kernarg_segment_size: 20
    .language:       OpenCL C
    .language_version:
      - 2
      - 0
    .max_flat_workgroup_size: 64
    .name:           _Z21sort_key_value_kernelILj64ELj2E6__halfS0_N10test_utils7greaterEEvPT1_PT2_T3_
    .private_segment_fixed_size: 0
    .sgpr_count:     12
    .sgpr_spill_count: 0
    .symbol:         _Z21sort_key_value_kernelILj64ELj2E6__halfS0_N10test_utils7greaterEEvPT1_PT2_T3_.kd
    .uniform_work_group_size: 1
    .uses_dynamic_stack: false
    .vgpr_count:     20
    .vgpr_spill_count: 0
    .wavefront_size: 32
  - .args:
      - .address_space:  global
        .offset:         0
        .size:           8
        .value_kind:     global_buffer
      - .address_space:  global
        .offset:         8
        .size:           8
        .value_kind:     global_buffer
      - .offset:         16
        .size:           1
        .value_kind:     by_value
    .group_segment_fixed_size: 516
    .kernarg_segment_align: 8
    .kernarg_segment_size: 20
    .language:       OpenCL C
    .language_version:
      - 2
      - 0
    .max_flat_workgroup_size: 64
    .name:           _Z21sort_key_value_kernelILj64ELj2EfcN10test_utils7greaterEEvPT1_PT2_T3_
    .private_segment_fixed_size: 0
    .sgpr_count:     10
    .sgpr_spill_count: 0
    .symbol:         _Z21sort_key_value_kernelILj64ELj2EfcN10test_utils7greaterEEvPT1_PT2_T3_.kd
    .uniform_work_group_size: 1
    .uses_dynamic_stack: false
    .vgpr_count:     21
    .vgpr_spill_count: 0
    .wavefront_size: 32
  - .args:
      - .address_space:  global
        .offset:         0
        .size:           8
        .value_kind:     global_buffer
      - .address_space:  global
        .offset:         8
        .size:           8
        .value_kind:     global_buffer
      - .offset:         16
        .size:           1
        .value_kind:     by_value
    .group_segment_fixed_size: 2050
    .kernarg_segment_align: 8
    .kernarg_segment_size: 20
    .language:       OpenCL C
    .language_version:
      - 2
      - 0
    .max_flat_workgroup_size: 1024
    .name:           _Z21sort_key_value_kernelILj1024ELj1EtcN10test_utils7greaterEEvPT1_PT2_T3_
    .private_segment_fixed_size: 0
    .sgpr_count:     10
    .sgpr_spill_count: 0
    .symbol:         _Z21sort_key_value_kernelILj1024ELj1EtcN10test_utils7greaterEEvPT1_PT2_T3_.kd
    .uniform_work_group_size: 1
    .uses_dynamic_stack: false
    .vgpr_count:     18
    .vgpr_spill_count: 0
    .wavefront_size: 32
  - .args:
      - .address_space:  global
        .offset:         0
        .size:           8
        .value_kind:     global_buffer
      - .address_space:  global
        .offset:         8
        .size:           8
        .value_kind:     global_buffer
      - .offset:         16
        .size:           1
        .value_kind:     by_value
    .group_segment_fixed_size: 1028
    .kernarg_segment_align: 8
    .kernarg_segment_size: 20
    .language:       OpenCL C
    .language_version:
      - 2
      - 0
    .max_flat_workgroup_size: 256
    .name:           _Z21sort_key_value_kernelILj256ELj1EjiN10test_utils4lessEEvPT1_PT2_T3_
    .private_segment_fixed_size: 0
    .sgpr_count:     12
    .sgpr_spill_count: 0
    .symbol:         _Z21sort_key_value_kernelILj256ELj1EjiN10test_utils4lessEEvPT1_PT2_T3_.kd
    .uniform_work_group_size: 1
    .uses_dynamic_stack: false
    .vgpr_count:     19
    .vgpr_spill_count: 0
    .wavefront_size: 32
  - .args:
      - .address_space:  global
        .offset:         0
        .size:           8
        .value_kind:     global_buffer
      - .address_space:  global
        .offset:         8
        .size:           8
        .value_kind:     global_buffer
      - .offset:         16
        .size:           1
        .value_kind:     by_value
    .group_segment_fixed_size: 516
    .kernarg_segment_align: 8
    .kernarg_segment_size: 20
    .language:       OpenCL C
    .language_version:
      - 2
      - 0
    .max_flat_workgroup_size: 128
    .name:           _Z21sort_key_value_kernelILj128ELj1EiiN10test_utils4lessEEvPT1_PT2_T3_
    .private_segment_fixed_size: 0
    .sgpr_count:     12
    .sgpr_spill_count: 0
    .symbol:         _Z21sort_key_value_kernelILj128ELj1EiiN10test_utils4lessEEvPT1_PT2_T3_.kd
    .uniform_work_group_size: 1
    .uses_dynamic_stack: false
    .vgpr_count:     19
    .vgpr_spill_count: 0
    .wavefront_size: 32
  - .args:
      - .address_space:  global
        .offset:         0
        .size:           8
        .value_kind:     global_buffer
      - .address_space:  global
        .offset:         8
        .size:           8
        .value_kind:     global_buffer
      - .offset:         16
        .size:           1
        .value_kind:     by_value
    .group_segment_fixed_size: 260
    .kernarg_segment_align: 8
    .kernarg_segment_size: 20
    .language:       OpenCL C
    .language_version:
      - 2
      - 0
    .max_flat_workgroup_size: 64
    .name:           _Z21sort_key_value_kernelILj64ELj1EjiN10test_utils4lessEEvPT1_PT2_T3_
    .private_segment_fixed_size: 0
    .sgpr_count:     12
    .sgpr_spill_count: 0
    .symbol:         _Z21sort_key_value_kernelILj64ELj1EjiN10test_utils4lessEEvPT1_PT2_T3_.kd
    .uniform_work_group_size: 1
    .uses_dynamic_stack: false
    .vgpr_count:     19
    .vgpr_spill_count: 0
    .wavefront_size: 32
amdhsa.target:   amdgcn-amd-amdhsa--gfx1250
amdhsa.version:
  - 1
  - 2
...

	.end_amdgpu_metadata
